;; amdgpu-corpus repo=ROCm/rocFFT kind=compiled arch=gfx906 opt=O3
	.text
	.amdgcn_target "amdgcn-amd-amdhsa--gfx906"
	.amdhsa_code_object_version 6
	.protected	bluestein_single_back_len3750_dim1_sp_op_CI_CI ; -- Begin function bluestein_single_back_len3750_dim1_sp_op_CI_CI
	.globl	bluestein_single_back_len3750_dim1_sp_op_CI_CI
	.p2align	8
	.type	bluestein_single_back_len3750_dim1_sp_op_CI_CI,@function
bluestein_single_back_len3750_dim1_sp_op_CI_CI: ; @bluestein_single_back_len3750_dim1_sp_op_CI_CI
; %bb.0:
	s_load_dwordx4 s[12:15], s[4:5], 0x28
	s_mov_b64 s[26:27], s[2:3]
	v_mul_u32_u24_e32 v3, 0x20d, v0
	s_mov_b64 s[24:25], s[0:1]
	v_add_u32_sdwa v1, s6, v3 dst_sel:DWORD dst_unused:UNUSED_PAD src0_sel:DWORD src1_sel:WORD_1
	v_mov_b32_e32 v2, 0
	s_add_u32 s24, s24, s7
	s_waitcnt lgkmcnt(0)
	v_cmp_gt_u64_e32 vcc, s[12:13], v[1:2]
	s_addc_u32 s25, s25, 0
	s_and_saveexec_b64 s[0:1], vcc
	s_cbranch_execz .LBB0_2
; %bb.1:
	s_load_dwordx4 s[8:11], s[4:5], 0x0
	s_load_dwordx4 s[16:19], s[4:5], 0x18
	s_load_dwordx2 s[12:13], s[4:5], 0x38
	s_movk_i32 s20, 0x7d
	v_mul_lo_u16_sdwa v2, v3, s20 dst_sel:DWORD dst_unused:UNUSED_PAD src0_sel:WORD_1 src1_sel:DWORD
	v_sub_u16_e32 v160, v0, v2
	s_waitcnt lgkmcnt(0)
	s_load_dwordx4 s[0:3], s[18:19], 0x0
	v_lshlrev_b32_e32 v74, 3, v160
	v_add_u32_e32 v29, 0x5400, v74
	v_mov_b32_e32 v96, v29
	v_mov_b32_e32 v151, v96
	s_waitcnt lgkmcnt(0)
	v_mad_u64_u32 v[4:5], s[4:5], s2, v1, 0
	v_mov_b32_e32 v164, v151
	v_mov_b32_e32 v210, v164
	;; [unrolled: 1-line block ×3, first 2 shown]
	v_mad_u64_u32 v[2:3], s[2:3], s3, v1, v[0:1]
                                        ; kill: killed $sgpr8_sgpr9
	v_mov_b32_e32 v5, v2
	buffer_store_dword v4, off, s[24:27], 0 offset:152 ; 4-byte Folded Spill
	s_nop 0
	buffer_store_dword v5, off, s[24:27], 0 offset:156 ; 4-byte Folded Spill
	s_load_dwordx4 s[4:7], s[16:17], 0x0
	s_waitcnt lgkmcnt(0)
	v_mad_u64_u32 v[2:3], s[2:3], s6, v1, 0
	s_mul_hi_u32 s6, s4, 0x2710
	v_mov_b32_e32 v0, v3
	v_mad_u64_u32 v[0:1], s[2:3], s7, v1, v[0:1]
	s_mul_i32 s7, s4, 0x2710
	v_mov_b32_e32 v3, v0
	v_mad_u64_u32 v[0:1], s[2:3], s4, v160, 0
	v_mad_u64_u32 v[4:5], s[2:3], s5, v160, v[1:2]
	global_load_dwordx2 v[5:6], v74, s[8:9]
	v_lshlrev_b64 v[2:3], 3, v[2:3]
	v_mov_b32_e32 v1, v4
	v_add_co_u32_e32 v2, vcc, s14, v2
	v_mov_b32_e32 v4, s15
	v_lshlrev_b64 v[0:1], 3, v[0:1]
	v_addc_co_u32_e32 v3, vcc, v4, v3, vcc
	v_add_co_u32_e32 v0, vcc, v2, v0
	v_addc_co_u32_e32 v1, vcc, v3, v1, vcc
	global_load_dwordx2 v[2:3], v[0:1], off
	v_add_co_u32_e32 v254, vcc, s8, v74
	v_mov_b32_e32 v4, s9
	v_addc_co_u32_e32 v204, vcc, 0, v4, vcc
	s_mul_i32 s2, s5, 0x2710
	s_add_i32 s6, s6, s2
	v_add_co_u32_e32 v0, vcc, s7, v0
	s_movk_i32 s2, 0x2000
	s_mul_hi_u32 s3, s4, 0xffffb5c8
	s_waitcnt vmcnt(1)
	buffer_store_dword v5, off, s[24:27], 0 offset:240 ; 4-byte Folded Spill
	s_nop 0
	buffer_store_dword v6, off, s[24:27], 0 offset:244 ; 4-byte Folded Spill
	s_waitcnt vmcnt(2)
	v_mul_f32_e32 v4, v3, v6
	v_fmac_f32_e32 v4, v2, v5
	v_mul_f32_e32 v2, v2, v6
	v_fma_f32 v5, v3, v5, -v2
	v_mov_b32_e32 v2, s6
	v_addc_co_u32_e32 v1, vcc, v1, v2, vcc
	v_add_co_u32_e32 v2, vcc, s2, v254
	v_addc_co_u32_e32 v3, vcc, 0, v204, vcc
	global_load_dwordx2 v[9:10], v[2:3], off offset:1808
	global_load_dwordx2 v[6:7], v[0:1], off
	s_movk_i32 s2, 0x4000
                                        ; kill: killed $vgpr2 killed $vgpr3
	s_waitcnt vmcnt(1)
	buffer_store_dword v9, off, s[24:27], 0 offset:224 ; 4-byte Folded Spill
	s_nop 0
	buffer_store_dword v10, off, s[24:27], 0 offset:228 ; 4-byte Folded Spill
	s_waitcnt vmcnt(2)
	v_mul_f32_e32 v8, v7, v10
	v_fmac_f32_e32 v8, v6, v9
	v_mul_f32_e32 v6, v6, v10
	v_fma_f32 v9, v7, v9, -v6
	v_add_co_u32_e32 v6, vcc, s7, v0
	v_mov_b32_e32 v0, s6
	v_addc_co_u32_e32 v7, vcc, v1, v0, vcc
	v_add_co_u32_e32 v0, vcc, s2, v254
	v_addc_co_u32_e32 v1, vcc, 0, v204, vcc
	global_load_dwordx2 v[11:12], v[0:1], off offset:3616
	ds_write_b64 v74, v[8:9] offset:10000
	global_load_dwordx2 v[8:9], v[6:7], off
	s_mul_i32 s2, s5, 0xffffb5c8
	s_sub_i32 s5, s3, s4
	v_add_co_u32_e32 v205, vcc, s20, v160
	s_add_i32 s5, s5, s2
	s_mulk_i32 s4, 0xb5c8
	v_add_co_u32_e32 v6, vcc, s4, v6
	s_movk_i32 s2, 0x5000
	s_movk_i32 s3, 0x6000
                                        ; kill: killed $vgpr0 killed $vgpr1
	s_waitcnt vmcnt(1)
	buffer_store_dword v11, off, s[24:27], 0 offset:216 ; 4-byte Folded Spill
	s_nop 0
	buffer_store_dword v12, off, s[24:27], 0 offset:220 ; 4-byte Folded Spill
	s_waitcnt vmcnt(2)
	v_mul_f32_e32 v10, v9, v12
	v_fmac_f32_e32 v10, v8, v11
	v_mul_f32_e32 v8, v8, v12
	v_fma_f32 v11, v9, v11, -v8
	v_mov_b32_e32 v8, s5
	ds_write_b64 v74, v[10:11] offset:20000
	v_addc_co_u32_e32 v7, vcc, v7, v8, vcc
	global_load_dwordx2 v[8:9], v[6:7], off
	global_load_dwordx2 v[11:12], v74, s[8:9] offset:1000
	s_waitcnt vmcnt(0)
	buffer_store_dword v11, off, s[24:27], 0 offset:208 ; 4-byte Folded Spill
	s_nop 0
	buffer_store_dword v12, off, s[24:27], 0 offset:212 ; 4-byte Folded Spill
	v_mul_f32_e32 v10, v9, v12
	v_fmac_f32_e32 v10, v8, v11
	v_mul_f32_e32 v8, v8, v12
	v_fma_f32 v11, v9, v11, -v8
	ds_write2_b64 v74, v[4:5], v[10:11] offset1:125
	v_add_co_u32_e32 v4, vcc, s7, v6
	v_mov_b32_e32 v5, s6
	v_addc_co_u32_e32 v5, vcc, v7, v5, vcc
	global_load_dwordx2 v[6:7], v[4:5], off
	global_load_dwordx2 v[9:10], v[2:3], off offset:2808
	v_add_co_u32_e32 v4, vcc, s7, v4
	s_waitcnt vmcnt(0)
	buffer_store_dword v9, off, s[24:27], 0 offset:160 ; 4-byte Folded Spill
	s_nop 0
	buffer_store_dword v10, off, s[24:27], 0 offset:164 ; 4-byte Folded Spill
	v_mul_f32_e32 v8, v7, v10
	v_fmac_f32_e32 v8, v6, v9
	v_mul_f32_e32 v6, v6, v10
	v_fma_f32 v9, v7, v9, -v6
	v_mov_b32_e32 v6, s6
	v_addc_co_u32_e32 v5, vcc, v5, v6, vcc
	v_add_co_u32_e32 v10, vcc, s2, v254
	v_addc_co_u32_e32 v11, vcc, 0, v204, vcc
	global_load_dwordx2 v[13:14], v[10:11], off offset:520
	global_load_dwordx2 v[6:7], v[4:5], off
	s_movk_i32 s2, 0xfa
	v_add_co_u32_e32 v206, vcc, s2, v160
	v_add_co_u32_e32 v4, vcc, s4, v4
	s_movk_i32 s2, 0x177
                                        ; kill: killed $vgpr10 killed $vgpr11
	s_waitcnt vmcnt(1)
	buffer_store_dword v13, off, s[24:27], 0 offset:200 ; 4-byte Folded Spill
	s_nop 0
	buffer_store_dword v14, off, s[24:27], 0 offset:204 ; 4-byte Folded Spill
	s_waitcnt vmcnt(2)
	v_mul_f32_e32 v12, v7, v14
	v_fmac_f32_e32 v12, v6, v13
	v_mul_f32_e32 v6, v6, v14
	v_fma_f32 v13, v7, v13, -v6
	v_mov_b32_e32 v6, s5
	v_addc_co_u32_e32 v5, vcc, v5, v6, vcc
	global_load_dwordx2 v[6:7], v[4:5], off
	global_load_dwordx2 v[15:16], v74, s[8:9] offset:2000
	v_add_co_u32_e32 v4, vcc, s7, v4
	s_waitcnt vmcnt(0)
	buffer_store_dword v15, off, s[24:27], 0 offset:184 ; 4-byte Folded Spill
	s_nop 0
	buffer_store_dword v16, off, s[24:27], 0 offset:188 ; 4-byte Folded Spill
	v_mul_f32_e32 v14, v7, v16
	v_fmac_f32_e32 v14, v6, v15
	v_mul_f32_e32 v6, v6, v16
	v_fma_f32 v15, v7, v15, -v6
	v_mov_b32_e32 v6, s6
	v_addc_co_u32_e32 v5, vcc, v5, v6, vcc
	global_load_dwordx2 v[6:7], v[4:5], off
	global_load_dwordx2 v[17:18], v[2:3], off offset:3808
	v_add_co_u32_e32 v4, vcc, s7, v4
	s_waitcnt vmcnt(0)
	buffer_store_dword v17, off, s[24:27], 0 offset:128 ; 4-byte Folded Spill
	s_nop 0
	buffer_store_dword v18, off, s[24:27], 0 offset:132 ; 4-byte Folded Spill
	v_mul_f32_e32 v16, v7, v18
	v_fmac_f32_e32 v16, v6, v17
	v_mul_f32_e32 v6, v6, v18
	v_fma_f32 v17, v7, v17, -v6
	v_add_u32_e32 v6, 0x2800, v74
	ds_write2_b64 v6, v[8:9], v[16:17] offset0:95 offset1:220
	v_mov_b32_e32 v6, s6
	v_addc_co_u32_e32 v5, vcc, v5, v6, vcc
	global_load_dwordx2 v[6:7], v[4:5], off
	global_load_dwordx2 v[16:17], v[10:11], off offset:1520
	v_add_co_u32_e32 v30, vcc, s2, v160
	v_add_co_u32_e32 v4, vcc, s4, v4
	s_movk_i32 s2, 0x3000
	s_waitcnt vmcnt(0)
	buffer_store_dword v16, off, s[24:27], 0 offset:96 ; 4-byte Folded Spill
	s_nop 0
	buffer_store_dword v17, off, s[24:27], 0 offset:100 ; 4-byte Folded Spill
	v_mul_f32_e32 v8, v7, v17
	v_fmac_f32_e32 v8, v6, v16
	v_mul_f32_e32 v6, v6, v17
	v_fma_f32 v9, v7, v16, -v6
	v_add_u32_e32 v6, 0x5000, v74
	ds_write2_b64 v6, v[12:13], v[8:9] offset0:65 offset1:190
	v_mov_b32_e32 v6, s5
	v_addc_co_u32_e32 v5, vcc, v5, v6, vcc
	global_load_dwordx2 v[6:7], v[4:5], off
	global_load_dwordx2 v[12:13], v74, s[8:9] offset:3000
	v_add_co_u32_e32 v4, vcc, s7, v4
	s_waitcnt vmcnt(0)
	buffer_store_dword v12, off, s[24:27], 0 offset:120 ; 4-byte Folded Spill
	s_nop 0
	buffer_store_dword v13, off, s[24:27], 0 offset:124 ; 4-byte Folded Spill
	v_mul_f32_e32 v8, v7, v13
	v_fmac_f32_e32 v8, v6, v12
	v_mul_f32_e32 v6, v6, v13
	v_fma_f32 v9, v7, v12, -v6
	v_add_u32_e32 v6, 0x400, v74
	ds_write2_b64 v6, v[14:15], v[8:9] offset0:122 offset1:247
	v_mov_b32_e32 v24, v6
	v_mov_b32_e32 v6, s6
	v_addc_co_u32_e32 v5, vcc, v5, v6, vcc
	v_add_co_u32_e32 v8, vcc, s2, v254
	v_addc_co_u32_e32 v9, vcc, 0, v204, vcc
	global_load_dwordx2 v[13:14], v[8:9], off offset:712
	global_load_dwordx2 v[6:7], v[4:5], off
	v_add_co_u32_e32 v4, vcc, s7, v4
	s_movk_i32 s2, 0x1f4
                                        ; kill: killed $vgpr8 killed $vgpr9
	v_mov_b32_e32 v78, v24
	v_mov_b32_e32 v154, v78
	v_mov_b32_e32 v166, v154
	s_waitcnt vmcnt(1)
	buffer_store_dword v13, off, s[24:27], 0 offset:192 ; 4-byte Folded Spill
	s_nop 0
	buffer_store_dword v14, off, s[24:27], 0 offset:196 ; 4-byte Folded Spill
	s_waitcnt vmcnt(2)
	v_mul_f32_e32 v12, v7, v14
	v_fmac_f32_e32 v12, v6, v13
	v_mul_f32_e32 v6, v6, v14
	v_fma_f32 v13, v7, v13, -v6
	v_mov_b32_e32 v6, s6
	v_addc_co_u32_e32 v5, vcc, v5, v6, vcc
	global_load_dwordx2 v[6:7], v[4:5], off
	global_load_dwordx2 v[15:16], v[10:11], off offset:2520
	v_add_co_u32_e32 v189, vcc, s2, v160
	v_add_co_u32_e32 v4, vcc, s4, v4
	s_movk_i32 s2, 0x271
	s_waitcnt vmcnt(0)
	buffer_store_dword v15, off, s[24:27], 0 offset:168 ; 4-byte Folded Spill
	s_nop 0
	buffer_store_dword v16, off, s[24:27], 0 offset:172 ; 4-byte Folded Spill
	v_mul_f32_e32 v14, v7, v16
	v_fmac_f32_e32 v14, v6, v15
	v_mul_f32_e32 v6, v6, v16
	v_fma_f32 v15, v7, v15, -v6
	v_mov_b32_e32 v6, s5
	v_addc_co_u32_e32 v5, vcc, v5, v6, vcc
	global_load_dwordx2 v[6:7], v[4:5], off
	global_load_dwordx2 v[17:18], v74, s[8:9] offset:4000
	v_add_co_u32_e32 v4, vcc, s7, v4
	s_waitcnt vmcnt(0)
	buffer_store_dword v17, off, s[24:27], 0 offset:136 ; 4-byte Folded Spill
	s_nop 0
	buffer_store_dword v18, off, s[24:27], 0 offset:140 ; 4-byte Folded Spill
	v_mul_f32_e32 v16, v7, v18
	v_fmac_f32_e32 v16, v6, v17
	v_mul_f32_e32 v6, v6, v18
	v_fma_f32 v17, v7, v17, -v6
	v_mov_b32_e32 v6, s6
	v_addc_co_u32_e32 v5, vcc, v5, v6, vcc
	global_load_dwordx2 v[6:7], v[4:5], off
	global_load_dwordx2 v[19:20], v[8:9], off offset:1712
	v_add_co_u32_e32 v4, vcc, s7, v4
	s_waitcnt vmcnt(0)
	buffer_store_dword v19, off, s[24:27], 0 offset:104 ; 4-byte Folded Spill
	s_nop 0
	buffer_store_dword v20, off, s[24:27], 0 offset:108 ; 4-byte Folded Spill
	v_mul_f32_e32 v18, v7, v20
	v_fmac_f32_e32 v18, v6, v19
	v_mul_f32_e32 v6, v6, v20
	v_fma_f32 v19, v7, v19, -v6
	v_add_u32_e32 v6, 0x3000, v74
	ds_write2_b64 v6, v[12:13], v[18:19] offset0:89 offset1:214
	v_mov_b32_e32 v6, s6
	v_addc_co_u32_e32 v5, vcc, v5, v6, vcc
	global_load_dwordx2 v[6:7], v[4:5], off
	global_load_dwordx2 v[12:13], v[10:11], off offset:3520
	v_add_co_u32_e32 v188, vcc, s2, v160
	v_add_co_u32_e32 v4, vcc, s4, v4
	s_movk_i32 s2, 0x1000
	s_waitcnt vmcnt(0)
	buffer_store_dword v12, off, s[24:27], 0 offset:176 ; 4-byte Folded Spill
	s_nop 0
	buffer_store_dword v13, off, s[24:27], 0 offset:180 ; 4-byte Folded Spill
	v_mul_f32_e32 v10, v7, v13
	v_fmac_f32_e32 v10, v6, v12
	v_mul_f32_e32 v6, v6, v13
	v_fma_f32 v11, v7, v12, -v6
	v_add_u32_e32 v6, 0x5800, v74
	ds_write2_b64 v6, v[14:15], v[10:11] offset0:59 offset1:184
	v_mov_b32_e32 v6, s5
	v_addc_co_u32_e32 v5, vcc, v5, v6, vcc
	v_add_co_u32_e32 v10, vcc, s2, v254
	v_addc_co_u32_e32 v11, vcc, 0, v204, vcc
	global_load_dwordx2 v[13:14], v[10:11], off offset:904
	global_load_dwordx2 v[6:7], v[4:5], off
	v_add_co_u32_e32 v4, vcc, s7, v4
                                        ; kill: killed $vgpr10 killed $vgpr11
	s_waitcnt vmcnt(1)
	buffer_store_dword v13, off, s[24:27], 0 offset:144 ; 4-byte Folded Spill
	s_nop 0
	buffer_store_dword v14, off, s[24:27], 0 offset:148 ; 4-byte Folded Spill
	s_waitcnt vmcnt(2)
	v_mul_f32_e32 v12, v7, v14
	v_fmac_f32_e32 v12, v6, v13
	v_mul_f32_e32 v6, v6, v14
	v_fma_f32 v13, v7, v13, -v6
	v_add_u32_e32 v6, 0xc00, v74
	ds_write2_b64 v6, v[16:17], v[12:13] offset0:116 offset1:241
	v_mov_b32_e32 v31, v6
	v_mov_b32_e32 v6, s6
	v_addc_co_u32_e32 v5, vcc, v5, v6, vcc
	global_load_dwordx2 v[6:7], v[4:5], off
	global_load_dwordx2 v[13:14], v[8:9], off offset:2712
	v_mov_b32_e32 v94, v31
	v_mov_b32_e32 v153, v94
	;; [unrolled: 1-line block ×3, first 2 shown]
	s_waitcnt vmcnt(0)
	buffer_store_dword v13, off, s[24:27], 0 offset:112 ; 4-byte Folded Spill
	s_nop 0
	buffer_store_dword v14, off, s[24:27], 0 offset:116 ; 4-byte Folded Spill
	v_mul_f32_e32 v12, v7, v14
	v_fmac_f32_e32 v12, v6, v13
	v_mul_f32_e32 v6, v6, v14
	v_fma_f32 v13, v7, v13, -v6
	v_add_co_u32_e32 v6, vcc, s7, v4
	v_mov_b32_e32 v4, s6
	v_addc_co_u32_e32 v7, vcc, v5, v4, vcc
	v_add_co_u32_e32 v14, vcc, s3, v254
	v_addc_co_u32_e32 v15, vcc, 0, v204, vcc
	global_load_dwordx2 v[17:18], v[14:15], off offset:424
	global_load_dwordx2 v[4:5], v[6:7], off
	s_waitcnt vmcnt(1)
	buffer_store_dword v17, off, s[24:27], 0 offset:88 ; 4-byte Folded Spill
	s_nop 0
	buffer_store_dword v18, off, s[24:27], 0 offset:92 ; 4-byte Folded Spill
                                        ; kill: killed $vgpr14 killed $vgpr15
	s_movk_i32 s3, 0x2ee
	s_waitcnt vmcnt(2)
	v_mul_f32_e32 v16, v5, v18
	v_fmac_f32_e32 v16, v4, v17
	v_mul_f32_e32 v4, v4, v18
	v_fma_f32 v17, v5, v17, -v4
	v_add_co_u32_e32 v5, vcc, s4, v6
	v_mov_b32_e32 v6, s5
	v_addc_co_u32_e32 v6, vcc, v7, v6, vcc
	global_load_dwordx2 v[18:19], v[5:6], off
	global_load_dwordx2 v[21:22], v[10:11], off offset:1904
	s_waitcnt vmcnt(0)
	buffer_store_dword v21, off, s[24:27], 0 offset:80 ; 4-byte Folded Spill
	s_nop 0
	buffer_store_dword v22, off, s[24:27], 0 offset:84 ; 4-byte Folded Spill
	v_add_co_u32_e32 v5, vcc, s7, v5
	v_add_u32_e32 v4, 0x2ee, v160
	v_mul_f32_e32 v20, v19, v22
	v_mul_f32_e32 v7, v18, v22
	v_fmac_f32_e32 v20, v18, v21
	v_fma_f32 v21, v19, v21, -v7
	v_mov_b32_e32 v7, s6
	v_addc_co_u32_e32 v6, vcc, v6, v7, vcc
	global_load_dwordx2 v[18:19], v[5:6], off
	global_load_dwordx2 v[22:23], v[8:9], off offset:3712
	s_waitcnt vmcnt(0)
	buffer_store_dword v22, off, s[24:27], 0 offset:72 ; 4-byte Folded Spill
	s_nop 0
	buffer_store_dword v23, off, s[24:27], 0 offset:76 ; 4-byte Folded Spill
	v_add_u32_e32 v9, 0x3800, v74
	v_mul_f32_e32 v7, v19, v23
	v_mul_f32_e32 v8, v18, v23
	v_fmac_f32_e32 v7, v18, v22
	v_fma_f32 v8, v19, v22, -v8
	ds_write2_b64 v9, v[12:13], v[7:8] offset0:83 offset1:208
	v_add_co_u32_e32 v7, vcc, s7, v5
	v_mov_b32_e32 v5, s6
	v_addc_co_u32_e32 v8, vcc, v6, v5, vcc
	global_load_dwordx2 v[5:6], v[7:8], off
	global_load_dwordx2 v[18:19], v[14:15], off offset:1424
	s_waitcnt vmcnt(0)
	buffer_store_dword v18, off, s[24:27], 0 offset:56 ; 4-byte Folded Spill
	s_nop 0
	buffer_store_dword v19, off, s[24:27], 0 offset:60 ; 4-byte Folded Spill
	v_mul_f32_e32 v12, v6, v19
	v_fmac_f32_e32 v12, v5, v18
	v_mul_f32_e32 v5, v5, v19
	v_fma_f32 v13, v6, v18, -v5
	v_add_u32_e32 v5, 0x6000, v74
	v_add_co_u32_e32 v6, vcc, s4, v7
	v_mov_b32_e32 v7, s5
	ds_write2_b64 v5, v[16:17], v[12:13] offset0:53 offset1:178
	v_addc_co_u32_e32 v7, vcc, v8, v7, vcc
	global_load_dwordx2 v[8:9], v[6:7], off
	global_load_dwordx2 v[16:17], v[10:11], off offset:2904
	s_waitcnt vmcnt(0)
	buffer_store_dword v16, off, s[24:27], 0 offset:40 ; 4-byte Folded Spill
	s_nop 0
	buffer_store_dword v17, off, s[24:27], 0 offset:44 ; 4-byte Folded Spill
	v_add_co_u32_e32 v6, vcc, s7, v6
	v_add_u32_e32 v5, 0x36b, v160
	v_mul_f32_e32 v12, v9, v17
	v_fmac_f32_e32 v12, v8, v16
	v_mul_f32_e32 v8, v8, v17
	v_fma_f32 v13, v9, v16, -v8
	v_add_u32_e32 v8, 0x1400, v74
	ds_write2_b64 v8, v[20:21], v[12:13] offset0:110 offset1:235
	v_mov_b32_e32 v28, v8
	v_mov_b32_e32 v8, s6
	v_addc_co_u32_e32 v7, vcc, v7, v8, vcc
	global_load_dwordx2 v[8:9], v[6:7], off
	global_load_dwordx2 v[16:17], v[0:1], off offset:616
	s_waitcnt vmcnt(0)
	buffer_store_dword v16, off, s[24:27], 0 offset:32 ; 4-byte Folded Spill
	s_nop 0
	buffer_store_dword v17, off, s[24:27], 0 offset:36 ; 4-byte Folded Spill
	v_mov_b32_e32 v70, v28
	v_mov_b32_e32 v146, v70
	;; [unrolled: 1-line block ×3, first 2 shown]
	v_mul_f32_e32 v12, v9, v17
	v_fmac_f32_e32 v12, v8, v16
	v_mul_f32_e32 v8, v8, v17
	v_fma_f32 v13, v9, v16, -v8
	v_add_co_u32_e32 v8, vcc, s7, v6
	v_mov_b32_e32 v6, s6
	v_addc_co_u32_e32 v9, vcc, v7, v6, vcc
	global_load_dwordx2 v[6:7], v[8:9], off
	global_load_dwordx2 v[17:18], v[14:15], off offset:2424
	s_waitcnt vmcnt(0)
	buffer_store_dword v17, off, s[24:27], 0 offset:24 ; 4-byte Folded Spill
	s_nop 0
	buffer_store_dword v18, off, s[24:27], 0 offset:28 ; 4-byte Folded Spill
	v_mul_f32_e32 v16, v7, v18
	v_fmac_f32_e32 v16, v6, v17
	v_mul_f32_e32 v6, v6, v18
	v_fma_f32 v17, v7, v17, -v6
	v_add_co_u32_e32 v7, vcc, s4, v8
	v_mov_b32_e32 v8, s5
	v_addc_co_u32_e32 v8, vcc, v9, v8, vcc
	global_load_dwordx2 v[18:19], v[7:8], off
	global_load_dwordx2 v[20:21], v[10:11], off offset:3904
	s_waitcnt vmcnt(0)
	buffer_store_dword v20, off, s[24:27], 0 offset:16 ; 4-byte Folded Spill
	s_nop 0
	buffer_store_dword v21, off, s[24:27], 0 offset:20 ; 4-byte Folded Spill
	v_add_co_u32_e32 v7, vcc, s7, v7
	v_mov_b32_e32 v11, s6
	v_addc_co_u32_e32 v8, vcc, v8, v11, vcc
	v_add_u32_e32 v6, 0x3e8, v160
	v_mul_f32_e32 v9, v19, v21
	v_mul_f32_e32 v10, v18, v21
	v_fmac_f32_e32 v9, v18, v20
	v_fma_f32 v10, v19, v20, -v10
	global_load_dwordx2 v[18:19], v[7:8], off
	global_load_dwordx2 v[21:22], v[0:1], off offset:1616
	s_waitcnt vmcnt(0)
	buffer_store_dword v21, off, s[24:27], 0 offset:8 ; 4-byte Folded Spill
	s_nop 0
	buffer_store_dword v22, off, s[24:27], 0 offset:12 ; 4-byte Folded Spill
	v_mul_f32_e32 v20, v19, v22
	v_mul_f32_e32 v11, v18, v22
	v_fmac_f32_e32 v20, v18, v21
	v_fma_f32 v21, v19, v21, -v11
	v_add_u32_e32 v11, 0x4000, v74
	ds_write2_b64 v11, v[12:13], v[20:21] offset0:77 offset1:202
	v_add_co_u32_e32 v11, vcc, s7, v7
	v_mov_b32_e32 v7, s6
	v_addc_co_u32_e32 v12, vcc, v8, v7, vcc
	global_load_dwordx2 v[7:8], v[11:12], off
	global_load_dwordx2 v[18:19], v[14:15], off offset:3424
	s_waitcnt vmcnt(0)
	buffer_store_dword v18, off, s[24:27], 0 ; 4-byte Folded Spill
	s_nop 0
	buffer_store_dword v19, off, s[24:27], 0 offset:4 ; 4-byte Folded Spill
	v_add_co_u32_e32 v11, vcc, s4, v11
	s_movk_i32 s4, 0x7000
	v_mul_f32_e32 v13, v8, v19
	v_fmac_f32_e32 v13, v7, v18
	v_mul_f32_e32 v7, v7, v19
	v_fma_f32 v14, v8, v18, -v7
	v_add_u32_e32 v7, 0x6800, v74
	v_mov_b32_e32 v8, s5
	ds_write2_b64 v7, v[16:17], v[13:14] offset0:47 offset1:172
	v_addc_co_u32_e32 v12, vcc, v12, v8, vcc
	global_load_dwordx2 v[13:14], v[11:12], off
	global_load_dwordx2 v[15:16], v[2:3], off offset:808
	s_waitcnt vmcnt(0)
	buffer_store_dword v15, off, s[24:27], 0 offset:64 ; 4-byte Folded Spill
	s_nop 0
	buffer_store_dword v16, off, s[24:27], 0 offset:68 ; 4-byte Folded Spill
	v_add_u32_e32 v8, 0x1c00, v74
	v_mov_b32_e32 v47, v8
	v_mov_b32_e32 v81, v47
	v_add_u32_e32 v7, 0x465, v160
	v_mov_b32_e32 v144, v81
	s_movk_i32 s5, 0xdb
	v_mul_f32_e32 v2, v14, v16
	v_mul_f32_e32 v3, v13, v16
	v_fmac_f32_e32 v2, v13, v15
	v_fma_f32 v3, v14, v15, -v3
	ds_write2_b64 v8, v[9:10], v[2:3] offset0:104 offset1:229
	v_add_co_u32_e32 v2, vcc, s7, v11
	v_mov_b32_e32 v3, s6
	v_addc_co_u32_e32 v3, vcc, v12, v3, vcc
	global_load_dwordx2 v[8:9], v[2:3], off
	global_load_dwordx2 v[10:11], v[0:1], off offset:2616
	s_waitcnt vmcnt(0)
	buffer_store_dword v10, off, s[24:27], 0 offset:48 ; 4-byte Folded Spill
	s_nop 0
	buffer_store_dword v11, off, s[24:27], 0 offset:52 ; 4-byte Folded Spill
	v_add_u32_e32 v12, 0x2400, v74
	v_add_u32_e32 v16, 0x4c00, v74
	v_mov_b32_e32 v93, v12
	v_mov_b32_e32 v89, v16
	;; [unrolled: 1-line block ×5, first 2 shown]
	v_mul_f32_e32 v0, v9, v11
	v_mul_f32_e32 v1, v8, v11
	v_fmac_f32_e32 v0, v8, v10
	v_fma_f32 v1, v9, v10, -v1
	ds_write_b64 v74, v[0:1] offset:19000
	v_add_co_u32_e32 v0, vcc, s7, v2
	v_mov_b32_e32 v1, s6
	v_addc_co_u32_e32 v1, vcc, v3, v1, vcc
	v_add_co_u32_e32 v2, vcc, s4, v254
	v_addc_co_u32_e32 v3, vcc, 0, v204, vcc
	global_load_dwordx2 v[0:1], v[0:1], off
	s_nop 0
	buffer_store_dword v2, off, s[24:27], 0 offset:476 ; 4-byte Folded Spill
	s_nop 0
	buffer_store_dword v3, off, s[24:27], 0 offset:480 ; 4-byte Folded Spill
	s_movk_i32 s4, 0xab
	s_mul_hi_u32 s6, s0, 0xffffb5c8
	s_sub_i32 s6, s6, s0
	global_load_dwordx2 v[8:9], v[2:3], off offset:328
	s_waitcnt vmcnt(0)
	v_mul_f32_e32 v2, v1, v9
	v_fmac_f32_e32 v2, v0, v8
	v_mul_f32_e32 v0, v0, v9
	buffer_store_dword v8, off, s[24:27], 0 offset:232 ; 4-byte Folded Spill
	s_nop 0
	buffer_store_dword v9, off, s[24:27], 0 offset:236 ; 4-byte Folded Spill
	v_fma_f32 v3, v1, v8, -v0
	ds_write_b64 v74, v[2:3] offset:29000
	s_waitcnt vmcnt(0) lgkmcnt(0)
	s_barrier
	ds_read2_b64 v[8:11], v12 offset0:98 offset1:223
	ds_read2_b64 v[12:15], v16 offset0:68 offset1:193
	ds_read2_b64 v[0:3], v74 offset1:125
	ds_read2_b64 v[16:19], v24 offset0:122 offset1:247
	v_add_u32_e32 v24, 0x2c00, v74
	ds_read2_b64 v[43:46], v28 offset0:110 offset1:235
	v_add_u32_e32 v28, 0x3c00, v74
	ds_read2_b64 v[20:23], v24 offset0:92 offset1:217
	v_mov_b32_e32 v77, v24
	ds_read2_b64 v[24:27], v29 offset0:62 offset1:187
	v_add_u32_e32 v29, 0x3400, v74
	ds_read2_b64 v[48:51], v28 offset0:80 offset1:205
	v_mov_b32_e32 v73, v28
	v_add_u32_e32 v28, 0x6400, v74
	ds_read2_b64 v[35:38], v29 offset0:86 offset1:211
	v_mov_b32_e32 v76, v29
	;; [unrolled: 3-line block ×4, first 2 shown]
	ds_read2_b64 v[60:63], v28 offset0:74 offset1:199
	v_mov_b32_e32 v79, v28
	v_add_u32_e32 v28, 0x6c00, v74
	s_waitcnt lgkmcnt(10)
	v_add_f32_e32 v29, v8, v12
	ds_read2_b64 v[64:67], v28 offset0:44 offset1:169
	v_mov_b32_e32 v71, v28
	s_waitcnt lgkmcnt(10)
	v_add_f32_e32 v28, v0, v8
	v_fma_f32 v0, -0.5, v29, v0
	v_sub_f32_e32 v29, v9, v13
	v_mov_b32_e32 v68, v0
	v_fmac_f32_e32 v68, 0x3f5db3d7, v29
	v_fmac_f32_e32 v0, 0xbf5db3d7, v29
	v_add_f32_e32 v29, v1, v9
	v_add_f32_e32 v9, v9, v13
	v_fma_f32 v1, -0.5, v9, v1
	v_sub_f32_e32 v8, v8, v12
	v_mov_b32_e32 v69, v1
	v_add_f32_e32 v9, v10, v14
	v_fmac_f32_e32 v69, 0xbf5db3d7, v8
	v_fmac_f32_e32 v1, 0x3f5db3d7, v8
	v_add_f32_e32 v8, v2, v10
	v_fma_f32 v2, -0.5, v9, v2
	v_add_f32_e32 v28, v28, v12
	v_sub_f32_e32 v9, v11, v15
	v_mov_b32_e32 v12, v2
	v_fmac_f32_e32 v12, 0x3f5db3d7, v9
	v_fmac_f32_e32 v2, 0xbf5db3d7, v9
	v_add_f32_e32 v9, v3, v11
	v_add_f32_e32 v11, v11, v15
	v_fmac_f32_e32 v3, -0.5, v11
	s_waitcnt lgkmcnt(6)
	v_add_f32_e32 v11, v20, v24
	v_add_f32_e32 v29, v29, v13
	;; [unrolled: 1-line block ×4, first 2 shown]
	v_sub_f32_e32 v10, v10, v14
	v_mov_b32_e32 v13, v3
	v_fma_f32 v14, -0.5, v11, v16
	v_add_f32_e32 v15, v21, v25
	v_fmac_f32_e32 v13, 0xbf5db3d7, v10
	v_fmac_f32_e32 v3, 0x3f5db3d7, v10
	v_add_f32_e32 v10, v16, v20
	v_sub_f32_e32 v11, v21, v25
	v_mov_b32_e32 v16, v14
	v_fma_f32 v15, -0.5, v15, v17
	ds_read2_b64 v[31:34], v31 offset0:116 offset1:241
	v_fmac_f32_e32 v16, 0x3f5db3d7, v11
	v_fmac_f32_e32 v14, 0xbf5db3d7, v11
	v_add_f32_e32 v11, v17, v21
	v_sub_f32_e32 v20, v20, v24
	v_mov_b32_e32 v17, v15
	v_add_f32_e32 v21, v22, v26
	v_fmac_f32_e32 v17, 0xbf5db3d7, v20
	v_fmac_f32_e32 v15, 0x3f5db3d7, v20
	v_add_f32_e32 v20, v18, v22
	v_fma_f32 v18, -0.5, v21, v18
	v_add_f32_e32 v10, v10, v24
	v_sub_f32_e32 v21, v23, v27
	v_mov_b32_e32 v24, v18
	v_fmac_f32_e32 v24, 0x3f5db3d7, v21
	v_fmac_f32_e32 v18, 0xbf5db3d7, v21
	v_add_f32_e32 v21, v19, v23
	v_add_f32_e32 v23, v23, v27
	v_fmac_f32_e32 v19, -0.5, v23
	s_waitcnt lgkmcnt(3)
	v_add_f32_e32 v23, v35, v39
	v_add_f32_e32 v11, v11, v25
	;; [unrolled: 1-line block ×4, first 2 shown]
	v_sub_f32_e32 v22, v22, v26
	v_mov_b32_e32 v25, v19
	s_waitcnt lgkmcnt(0)
	v_fma_f32 v26, -0.5, v23, v31
	v_add_f32_e32 v27, v36, v40
	v_fmac_f32_e32 v25, 0xbf5db3d7, v22
	v_fmac_f32_e32 v19, 0x3f5db3d7, v22
	v_add_f32_e32 v22, v31, v35
	v_sub_f32_e32 v23, v36, v40
	v_mov_b32_e32 v31, v26
	v_fma_f32 v27, -0.5, v27, v32
	v_fmac_f32_e32 v31, 0x3f5db3d7, v23
	v_fmac_f32_e32 v26, 0xbf5db3d7, v23
	v_add_f32_e32 v23, v32, v36
	v_sub_f32_e32 v35, v35, v39
	v_mov_b32_e32 v32, v27
	v_add_f32_e32 v36, v37, v41
	v_fmac_f32_e32 v32, 0xbf5db3d7, v35
	v_fmac_f32_e32 v27, 0x3f5db3d7, v35
	v_add_f32_e32 v35, v33, v37
	v_fma_f32 v33, -0.5, v36, v33
	v_add_f32_e32 v22, v22, v39
	v_sub_f32_e32 v36, v38, v42
	v_mov_b32_e32 v39, v33
	v_fmac_f32_e32 v39, 0x3f5db3d7, v36
	v_fmac_f32_e32 v33, 0xbf5db3d7, v36
	v_add_f32_e32 v36, v34, v38
	v_add_f32_e32 v38, v38, v42
	v_fmac_f32_e32 v34, -0.5, v38
	v_add_f32_e32 v38, v48, v52
	v_add_f32_e32 v23, v23, v40
	;; [unrolled: 1-line block ×4, first 2 shown]
	v_sub_f32_e32 v37, v37, v41
	v_mov_b32_e32 v40, v34
	v_fma_f32 v41, -0.5, v38, v43
	v_add_f32_e32 v42, v49, v53
	ds_read2_b64 v[56:59], v47 offset0:104 offset1:229
	v_fmac_f32_e32 v40, 0xbf5db3d7, v37
	v_fmac_f32_e32 v34, 0x3f5db3d7, v37
	v_add_f32_e32 v37, v43, v48
	v_sub_f32_e32 v38, v49, v53
	v_mov_b32_e32 v43, v41
	v_fma_f32 v42, -0.5, v42, v44
	v_fmac_f32_e32 v43, 0x3f5db3d7, v38
	v_fmac_f32_e32 v41, 0xbf5db3d7, v38
	v_add_f32_e32 v38, v44, v49
	v_sub_f32_e32 v47, v48, v52
	v_mov_b32_e32 v44, v42
	v_add_f32_e32 v48, v50, v54
	v_fmac_f32_e32 v44, 0xbf5db3d7, v47
	v_fmac_f32_e32 v42, 0x3f5db3d7, v47
	v_add_f32_e32 v47, v45, v50
	v_fma_f32 v45, -0.5, v48, v45
	v_sub_f32_e32 v48, v51, v55
	v_mov_b32_e32 v49, v45
	v_add_f32_e32 v37, v37, v52
	v_fmac_f32_e32 v49, 0x3f5db3d7, v48
	v_fmac_f32_e32 v45, 0xbf5db3d7, v48
	v_add_f32_e32 v48, v46, v51
	v_add_f32_e32 v51, v51, v55
	;; [unrolled: 1-line block ×5, first 2 shown]
	v_fmac_f32_e32 v46, -0.5, v51
	v_sub_f32_e32 v51, v50, v54
	s_waitcnt lgkmcnt(0)
	v_fma_f32 v53, -0.5, v52, v56
	v_add_f32_e32 v54, v61, v65
	v_add_f32_e32 v48, v48, v55
	v_mov_b32_e32 v50, v46
	v_sub_f32_e32 v52, v61, v65
	v_mov_b32_e32 v55, v53
	v_fma_f32 v54, -0.5, v54, v57
	v_fmac_f32_e32 v50, 0xbf5db3d7, v51
	v_fmac_f32_e32 v46, 0x3f5db3d7, v51
	v_add_f32_e32 v51, v56, v60
	v_fmac_f32_e32 v55, 0x3f5db3d7, v52
	v_fmac_f32_e32 v53, 0xbf5db3d7, v52
	v_add_f32_e32 v52, v57, v61
	v_sub_f32_e32 v57, v60, v64
	v_mov_b32_e32 v56, v54
	v_fmac_f32_e32 v56, 0xbf5db3d7, v57
	v_fmac_f32_e32 v54, 0x3f5db3d7, v57
	v_add_f32_e32 v57, v58, v62
	v_add_f32_e32 v60, v57, v66
	;; [unrolled: 1-line block ×3, first 2 shown]
	v_fma_f32 v58, -0.5, v57, v58
	v_add_f32_e32 v51, v51, v64
	v_sub_f32_e32 v57, v63, v67
	v_mov_b32_e32 v64, v58
	v_fmac_f32_e32 v64, 0x3f5db3d7, v57
	v_fmac_f32_e32 v58, 0xbf5db3d7, v57
	v_add_f32_e32 v57, v59, v63
	v_add_f32_e32 v61, v57, v67
	;; [unrolled: 1-line block ×3, first 2 shown]
	v_fmac_f32_e32 v59, -0.5, v57
	v_add_f32_e32 v52, v52, v65
	v_sub_f32_e32 v57, v62, v66
	v_mov_b32_e32 v65, v59
	v_fmac_f32_e32 v65, 0xbf5db3d7, v57
	v_fmac_f32_e32 v59, 0x3f5db3d7, v57
	v_mul_lo_u16_e32 v57, 3, v160
	v_lshlrev_b32_e32 v57, 3, v57
	s_barrier
	buffer_store_dword v57, off, s[24:27], 0 offset:436 ; 4-byte Folded Spill
	ds_write2_b64 v57, v[28:29], v[68:69] offset1:1
	ds_write_b64 v57, v[0:1] offset:16
	v_mul_u32_u24_e32 v0, 3, v205
	v_lshlrev_b32_e32 v0, 3, v0
	buffer_store_dword v0, off, s[24:27], 0 offset:432 ; 4-byte Folded Spill
	ds_write2_b64 v0, v[8:9], v[12:13] offset1:1
	ds_write_b64 v0, v[2:3] offset:16
	v_mul_u32_u24_e32 v0, 3, v206
	v_lshlrev_b32_e32 v0, 3, v0
	;; [unrolled: 5-line block ×6, first 2 shown]
	buffer_store_dword v0, off, s[24:27], 0 offset:412 ; 4-byte Folded Spill
	ds_write2_b64 v0, v[37:38], v[43:44] offset1:1
	ds_write_b64 v0, v[41:42] offset:16
	v_mul_u32_u24_e32 v0, 3, v5
	v_mul_lo_u16_sdwa v28, v160, s4 dst_sel:DWORD dst_unused:UNUSED_PAD src0_sel:BYTE_0 src1_sel:DWORD
	v_lshlrev_b32_e32 v0, 3, v0
	v_lshrrev_b16_e32 v33, 9, v28
	buffer_store_dword v0, off, s[24:27], 0 offset:408 ; 4-byte Folded Spill
	ds_write2_b64 v0, v[47:48], v[49:50] offset1:1
	ds_write_b64 v0, v[45:46] offset:16
	v_mul_u32_u24_e32 v0, 3, v6
	v_mul_lo_u16_e32 v28, 3, v33
	v_lshlrev_b32_e32 v0, 3, v0
	v_sub_u16_e32 v28, v160, v28
	buffer_store_dword v0, off, s[24:27], 0 offset:404 ; 4-byte Folded Spill
	ds_write2_b64 v0, v[51:52], v[55:56] offset1:1
	ds_write_b64 v0, v[53:54] offset:16
	v_mul_u32_u24_e32 v0, 3, v7
	v_and_b32_e32 v34, 0xff, v28
	v_lshlrev_b32_e32 v0, 3, v0
	v_lshlrev_b32_e32 v28, 5, v34
	buffer_store_dword v0, off, s[24:27], 0 offset:400 ; 4-byte Folded Spill
	ds_write2_b64 v0, v[60:61], v[64:65] offset1:1
	ds_write_b64 v0, v[58:59] offset:16
	s_waitcnt vmcnt(0) lgkmcnt(0)
	s_barrier
	ds_read2_b64 v[8:11], v74 offset1:125
	ds_read2_b64 v[35:38], v70 offset0:110 offset1:235
	ds_read2_b64 v[39:42], v77 offset0:92 offset1:217
	v_mov_b32_e32 v149, v77
	ds_read2_b64 v[43:46], v79 offset0:74 offset1:199
	v_mov_b32_e32 v95, v79
	ds_read2_b64 v[48:51], v75 offset0:56 offset1:181
	ds_read2_b64 v[4:7], v78 offset0:122 offset1:247
	;; [unrolled: 1-line block ×11, first 2 shown]
	global_load_dwordx4 v[96:99], v28, s[10:11] offset:16
	global_load_dwordx4 v[104:107], v28, s[10:11]
	v_mov_b32_e32 v145, v72
	v_mov_b32_e32 v152, v73
	;; [unrolled: 1-line block ×5, first 2 shown]
	v_mul_u32_u24_e32 v33, 15, v33
	v_add_lshl_u32 v33, v33, v34, 3
	v_mov_b32_e32 v155, v95
	v_mov_b32_e32 v163, v94
	;; [unrolled: 1-line block ×9, first 2 shown]
	s_waitcnt vmcnt(1) lgkmcnt(11)
	v_mul_f32_e32 v68, v43, v97
	s_waitcnt vmcnt(0)
	v_mul_f32_e32 v28, v36, v105
	v_fma_f32 v72, v35, v104, -v28
	v_mul_f32_e32 v28, v40, v107
	v_fma_f32 v73, v39, v106, -v28
	;; [unrolled: 2-line block ×3, first 2 shown]
	s_waitcnt lgkmcnt(10)
	v_mul_f32_e32 v28, v49, v99
	v_fma_f32 v76, v48, v98, -v28
	v_mul_lo_u16_sdwa v28, v205, s4 dst_sel:DWORD dst_unused:UNUSED_PAD src0_sel:BYTE_0 src1_sel:DWORD
	v_mul_f32_e32 v64, v35, v105
	v_lshrrev_b16_e32 v35, 9, v28
	v_mul_lo_u16_e32 v28, 3, v35
	v_sub_u16_e32 v28, v205, v28
	v_fmac_f32_e32 v64, v36, v104
	v_and_b32_e32 v36, 0xff, v28
	v_lshlrev_b32_e32 v28, 5, v36
	global_load_dwordx4 v[100:103], v28, s[10:11] offset:16
	global_load_dwordx4 v[108:111], v28, s[10:11]
	s_mov_b32 s4, 0xaaab
	v_fmac_f32_e32 v68, v44, v96
	v_mul_f32_e32 v66, v39, v107
	v_fmac_f32_e32 v66, v40, v106
	v_mul_f32_e32 v70, v48, v99
	v_fmac_f32_e32 v70, v49, v98
	v_sub_f32_e32 v29, v73, v75
	v_sub_f32_e32 v47, v70, v68
	s_waitcnt vmcnt(1)
	v_mul_f32_e32 v62, v50, v103
	s_waitcnt vmcnt(0)
	v_mul_f32_e32 v28, v38, v109
	v_fma_f32 v67, v37, v108, -v28
	v_mul_f32_e32 v28, v42, v111
	v_fma_f32 v69, v41, v110, -v28
	;; [unrolled: 2-line block ×4, first 2 shown]
	v_mul_u32_u24_sdwa v28, v206, s4 dst_sel:DWORD dst_unused:UNUSED_PAD src0_sel:WORD_0 src1_sel:DWORD
	v_mul_f32_e32 v55, v37, v109
	v_lshrrev_b32_e32 v37, 17, v28
	v_mul_lo_u16_e32 v28, 3, v37
	v_sub_u16_e32 v40, v206, v28
	v_lshlrev_b16_e32 v28, 2, v40
	v_lshlrev_b32_e32 v28, 3, v28
	global_load_dwordx4 v[112:115], v28, s[10:11] offset:16
	global_load_dwordx4 v[120:123], v28, s[10:11]
	v_mul_f32_e32 v58, v41, v111
	v_fmac_f32_e32 v58, v42, v110
	v_mul_f32_e32 v59, v45, v101
	v_fmac_f32_e32 v55, v38, v108
	v_fmac_f32_e32 v62, v51, v102
	;; [unrolled: 1-line block ×3, first 2 shown]
	s_waitcnt vmcnt(1) lgkmcnt(5)
	v_mul_f32_e32 v53, v89, v115
	s_waitcnt vmcnt(0)
	v_mul_f32_e32 v28, v78, v121
	v_fma_f32 v60, v77, v120, -v28
	v_mul_f32_e32 v28, v82, v123
	v_fma_f32 v61, v81, v122, -v28
	;; [unrolled: 2-line block ×4, first 2 shown]
	v_mul_u32_u24_sdwa v28, v30, s4 dst_sel:DWORD dst_unused:UNUSED_PAD src0_sel:WORD_0 src1_sel:DWORD
	v_lshrrev_b32_e32 v41, 17, v28
	v_mul_lo_u16_e32 v28, 3, v41
	v_sub_u16_e32 v42, v30, v28
	v_lshlrev_b16_e32 v28, 2, v42
	v_lshlrev_b32_e32 v28, 3, v28
	global_load_dwordx4 v[116:119], v28, s[10:11] offset:16
	global_load_dwordx4 v[124:127], v28, s[10:11]
	v_mul_f32_e32 v48, v77, v121
	v_fmac_f32_e32 v48, v78, v120
	v_mul_f32_e32 v49, v81, v123
	v_fmac_f32_e32 v49, v82, v122
	;; [unrolled: 2-line block ×3, first 2 shown]
	v_fmac_f32_e32 v51, v86, v112
	s_waitcnt vmcnt(1)
	v_mul_f32_e32 v46, v91, v119
	s_waitcnt vmcnt(0)
	v_mul_f32_e32 v28, v80, v125
	v_fma_f32 v50, v79, v124, -v28
	v_mul_f32_e32 v28, v84, v127
	v_fma_f32 v52, v83, v126, -v28
	;; [unrolled: 2-line block ×4, first 2 shown]
	v_mul_u32_u24_sdwa v28, v189, s4 dst_sel:DWORD dst_unused:UNUSED_PAD src0_sel:WORD_0 src1_sel:DWORD
	v_lshrrev_b32_e32 v43, 17, v28
	v_mul_lo_u16_e32 v28, 3, v43
	v_sub_u16_e32 v45, v189, v28
	v_lshlrev_b16_e32 v28, 2, v45
	v_lshlrev_b32_e32 v28, 3, v28
	global_load_dwordx4 v[128:131], v28, s[10:11] offset:16
	global_load_dwordx4 v[132:135], v28, s[10:11]
	v_mul_f32_e32 v32, v79, v125
	v_mul_f32_e32 v38, v83, v127
	v_fmac_f32_e32 v32, v80, v124
	v_fmac_f32_e32 v38, v84, v126
	v_mul_f32_e32 v39, v87, v117
	v_fmac_f32_e32 v46, v92, v118
	v_fmac_f32_e32 v39, v88, v116
	s_waitcnt vmcnt(0) lgkmcnt(3)
	v_mul_f32_e32 v28, v25, v133
	v_fma_f32 v31, v24, v132, -v28
	v_mul_f32_e32 v24, v24, v133
	v_fmac_f32_e32 v24, v25, v132
	s_waitcnt lgkmcnt(2)
	v_mul_f32_e32 v25, v21, v135
	v_fma_f32 v25, v20, v134, -v25
	v_mul_f32_e32 v20, v20, v135
	v_fmac_f32_e32 v20, v21, v134
	s_waitcnt lgkmcnt(1)
	v_mul_f32_e32 v21, v17, v129
	v_fma_f32 v21, v16, v128, -v21
	v_mul_f32_e32 v16, v16, v129
	v_fmac_f32_e32 v16, v17, v128
	s_waitcnt lgkmcnt(0)
	v_mul_f32_e32 v17, v13, v131
	v_fma_f32 v56, v12, v130, -v17
	v_mul_f32_e32 v17, v12, v131
	v_mul_u32_u24_sdwa v12, v188, s4 dst_sel:DWORD dst_unused:UNUSED_PAD src0_sel:WORD_0 src1_sel:DWORD
	v_lshrrev_b32_e32 v12, 17, v12
	v_fmac_f32_e32 v17, v13, v130
	v_mul_lo_u16_e32 v13, 3, v12
	v_sub_u16_e32 v13, v188, v13
	v_lshlrev_b16_e32 v28, 2, v13
	v_lshlrev_b32_e32 v28, 3, v28
	global_load_dwordx4 v[136:139], v28, s[10:11] offset:16
	global_load_dwordx4 v[140:143], v28, s[10:11]
	s_waitcnt vmcnt(0)
	s_barrier
	buffer_store_dword v33, off, s[24:27], 0 offset:396 ; 4-byte Folded Spill
	s_movk_i32 s4, 0x89
	v_mul_f32_e32 v84, v14, v139
	v_mul_f32_e32 v28, v27, v141
	v_fma_f32 v77, v26, v140, -v28
	v_mul_f32_e32 v78, v26, v141
	v_mul_f32_e32 v26, v23, v143
	v_fma_f32 v79, v22, v142, -v26
	;; [unrolled: 3-line block ×3, first 2 shown]
	v_mul_f32_e32 v82, v18, v137
	v_mul_f32_e32 v18, v15, v139
	v_fmac_f32_e32 v84, v15, v138
	v_add_f32_e32 v15, v73, v75
	v_fma_f32 v83, v14, v138, -v18
	v_fma_f32 v18, -0.5, v15, v8
	v_sub_f32_e32 v15, v64, v70
	v_mov_b32_e32 v22, v18
	v_fmac_f32_e32 v80, v23, v142
	v_fmac_f32_e32 v82, v19, v136
	;; [unrolled: 1-line block ×3, first 2 shown]
	v_sub_f32_e32 v19, v66, v68
	v_sub_f32_e32 v23, v72, v73
	;; [unrolled: 1-line block ×3, first 2 shown]
	v_fmac_f32_e32 v18, 0xbf737871, v15
	v_fmac_f32_e32 v22, 0x3f167918, v19
	v_add_f32_e32 v23, v23, v26
	v_fmac_f32_e32 v18, 0xbf167918, v19
	v_fmac_f32_e32 v22, 0x3e9e377a, v23
	;; [unrolled: 1-line block ×3, first 2 shown]
	v_add_f32_e32 v23, v72, v76
	v_add_f32_e32 v14, v8, v72
	v_fma_f32 v8, -0.5, v23, v8
	v_mov_b32_e32 v26, v8
	v_fmac_f32_e32 v78, v27, v140
	v_fmac_f32_e32 v26, 0xbf737871, v19
	v_sub_f32_e32 v23, v73, v72
	v_sub_f32_e32 v27, v75, v76
	v_fmac_f32_e32 v8, 0x3f737871, v19
	v_add_f32_e32 v19, v66, v68
	v_fmac_f32_e32 v26, 0x3f167918, v15
	v_add_f32_e32 v23, v23, v27
	v_fmac_f32_e32 v8, 0xbf167918, v15
	v_fma_f32 v19, -0.5, v19, v9
	v_fmac_f32_e32 v26, 0x3e9e377a, v23
	v_fmac_f32_e32 v8, 0x3e9e377a, v23
	v_sub_f32_e32 v28, v72, v76
	v_mov_b32_e32 v23, v19
	v_fmac_f32_e32 v23, 0xbf737871, v28
	v_sub_f32_e32 v27, v64, v66
	v_fmac_f32_e32 v19, 0x3f737871, v28
	v_fmac_f32_e32 v23, 0xbf167918, v29
	v_add_f32_e32 v27, v27, v47
	v_fmac_f32_e32 v19, 0x3f167918, v29
	v_fmac_f32_e32 v23, 0x3e9e377a, v27
	;; [unrolled: 1-line block ×3, first 2 shown]
	v_add_f32_e32 v27, v64, v70
	v_add_f32_e32 v15, v9, v64
	v_fma_f32 v9, -0.5, v27, v9
	v_mov_b32_e32 v27, v9
	v_fmac_f32_e32 v27, 0x3f737871, v29
	v_fmac_f32_e32 v9, 0xbf737871, v29
	v_add_f32_e32 v29, v69, v71
	v_sub_f32_e32 v47, v66, v64
	v_sub_f32_e32 v64, v68, v70
	v_fma_f32 v72, -0.5, v29, v10
	v_add_f32_e32 v15, v15, v66
	v_fmac_f32_e32 v27, 0xbf167918, v28
	v_add_f32_e32 v47, v47, v64
	v_fmac_f32_e32 v9, 0x3f167918, v28
	v_sub_f32_e32 v29, v55, v62
	v_mov_b32_e32 v66, v72
	v_add_f32_e32 v15, v15, v68
	v_fmac_f32_e32 v27, 0x3e9e377a, v47
	v_fmac_f32_e32 v9, 0x3e9e377a, v47
	;; [unrolled: 1-line block ×3, first 2 shown]
	v_sub_f32_e32 v47, v58, v59
	v_sub_f32_e32 v64, v67, v69
	;; [unrolled: 1-line block ×3, first 2 shown]
	v_fmac_f32_e32 v72, 0xbf737871, v29
	v_fmac_f32_e32 v66, 0x3f167918, v47
	v_add_f32_e32 v64, v64, v68
	v_fmac_f32_e32 v72, 0xbf167918, v47
	v_fmac_f32_e32 v66, 0x3e9e377a, v64
	v_fmac_f32_e32 v72, 0x3e9e377a, v64
	v_add_f32_e32 v64, v67, v44
	v_add_f32_e32 v28, v10, v67
	v_fma_f32 v10, -0.5, v64, v10
	v_mov_b32_e32 v68, v10
	v_add_f32_e32 v28, v28, v69
	v_fmac_f32_e32 v68, 0xbf737871, v47
	v_fmac_f32_e32 v10, 0x3f737871, v47
	v_add_f32_e32 v47, v58, v59
	v_add_f32_e32 v14, v14, v73
	;; [unrolled: 1-line block ×4, first 2 shown]
	v_sub_f32_e32 v64, v69, v67
	v_sub_f32_e32 v70, v71, v44
	v_fma_f32 v73, -0.5, v47, v11
	v_add_f32_e32 v28, v28, v44
	v_fmac_f32_e32 v68, 0x3f167918, v29
	v_add_f32_e32 v64, v64, v70
	v_fmac_f32_e32 v10, 0xbf167918, v29
	v_sub_f32_e32 v44, v67, v44
	v_mov_b32_e32 v67, v73
	v_fmac_f32_e32 v68, 0x3e9e377a, v64
	v_fmac_f32_e32 v10, 0x3e9e377a, v64
	;; [unrolled: 1-line block ×3, first 2 shown]
	v_sub_f32_e32 v47, v69, v71
	v_sub_f32_e32 v64, v55, v58
	;; [unrolled: 1-line block ×3, first 2 shown]
	v_fmac_f32_e32 v73, 0x3f737871, v44
	v_fmac_f32_e32 v67, 0xbf167918, v47
	v_add_f32_e32 v64, v64, v69
	v_fmac_f32_e32 v73, 0x3f167918, v47
	v_fmac_f32_e32 v67, 0x3e9e377a, v64
	;; [unrolled: 1-line block ×3, first 2 shown]
	v_add_f32_e32 v64, v55, v62
	v_add_f32_e32 v29, v11, v55
	v_fmac_f32_e32 v11, -0.5, v64
	v_mov_b32_e32 v69, v11
	v_fmac_f32_e32 v69, 0x3f737871, v47
	v_fmac_f32_e32 v11, 0xbf737871, v47
	;; [unrolled: 1-line block ×4, first 2 shown]
	v_add_f32_e32 v44, v4, v60
	v_add_f32_e32 v44, v44, v61
	;; [unrolled: 1-line block ×3, first 2 shown]
	v_sub_f32_e32 v55, v58, v55
	v_sub_f32_e32 v58, v59, v62
	v_add_f32_e32 v44, v44, v63
	v_add_f32_e32 v55, v55, v58
	;; [unrolled: 1-line block ×4, first 2 shown]
	v_fma_f32 v70, -0.5, v44, v4
	v_sub_f32_e32 v44, v48, v53
	v_mov_b32_e32 v64, v70
	v_add_f32_e32 v29, v29, v59
	v_fmac_f32_e32 v69, 0x3e9e377a, v55
	v_fmac_f32_e32 v11, 0x3e9e377a, v55
	;; [unrolled: 1-line block ×3, first 2 shown]
	v_sub_f32_e32 v47, v49, v51
	v_sub_f32_e32 v55, v60, v61
	v_sub_f32_e32 v59, v65, v63
	v_fmac_f32_e32 v70, 0xbf737871, v44
	v_fmac_f32_e32 v64, 0x3f167918, v47
	v_add_f32_e32 v55, v55, v59
	v_fmac_f32_e32 v70, 0xbf167918, v47
	v_fmac_f32_e32 v64, 0x3e9e377a, v55
	;; [unrolled: 1-line block ×3, first 2 shown]
	v_add_f32_e32 v55, v60, v65
	v_fma_f32 v4, -0.5, v55, v4
	v_add_f32_e32 v29, v29, v62
	v_mov_b32_e32 v62, v4
	v_fmac_f32_e32 v62, 0xbf737871, v47
	v_fmac_f32_e32 v4, 0x3f737871, v47
	;; [unrolled: 1-line block ×4, first 2 shown]
	v_add_f32_e32 v44, v5, v48
	v_add_f32_e32 v44, v44, v49
	v_sub_f32_e32 v55, v61, v60
	v_sub_f32_e32 v59, v63, v65
	v_add_f32_e32 v44, v44, v51
	v_add_f32_e32 v55, v55, v59
	v_add_f32_e32 v59, v44, v53
	v_add_f32_e32 v44, v49, v51
	v_fma_f32 v71, -0.5, v44, v5
	v_sub_f32_e32 v44, v60, v65
	v_mov_b32_e32 v65, v71
	v_fmac_f32_e32 v62, 0x3e9e377a, v55
	v_fmac_f32_e32 v4, 0x3e9e377a, v55
	;; [unrolled: 1-line block ×3, first 2 shown]
	v_sub_f32_e32 v47, v61, v63
	v_sub_f32_e32 v55, v48, v49
	;; [unrolled: 1-line block ×3, first 2 shown]
	v_fmac_f32_e32 v71, 0x3f737871, v44
	v_fmac_f32_e32 v65, 0xbf167918, v47
	v_add_f32_e32 v55, v55, v60
	v_fmac_f32_e32 v71, 0x3f167918, v47
	v_fmac_f32_e32 v65, 0x3e9e377a, v55
	;; [unrolled: 1-line block ×3, first 2 shown]
	v_add_f32_e32 v55, v48, v53
	v_fma_f32 v5, -0.5, v55, v5
	v_mov_b32_e32 v63, v5
	v_fmac_f32_e32 v63, 0x3f737871, v47
	v_fmac_f32_e32 v5, 0xbf737871, v47
	;; [unrolled: 1-line block ×4, first 2 shown]
	v_add_f32_e32 v44, v6, v50
	v_add_f32_e32 v44, v44, v52
	;; [unrolled: 1-line block ×5, first 2 shown]
	v_sub_f32_e32 v48, v49, v48
	v_sub_f32_e32 v49, v51, v53
	v_fma_f32 v60, -0.5, v44, v6
	v_add_f32_e32 v48, v48, v49
	v_sub_f32_e32 v44, v32, v46
	v_mov_b32_e32 v49, v60
	v_fmac_f32_e32 v63, 0x3e9e377a, v48
	v_fmac_f32_e32 v5, 0x3e9e377a, v48
	;; [unrolled: 1-line block ×3, first 2 shown]
	v_sub_f32_e32 v48, v38, v39
	v_sub_f32_e32 v51, v50, v52
	;; [unrolled: 1-line block ×3, first 2 shown]
	v_fmac_f32_e32 v60, 0xbf737871, v44
	v_fmac_f32_e32 v49, 0x3f167918, v48
	v_add_f32_e32 v51, v51, v53
	v_fmac_f32_e32 v60, 0xbf167918, v48
	v_fmac_f32_e32 v49, 0x3e9e377a, v51
	v_fmac_f32_e32 v60, 0x3e9e377a, v51
	v_add_f32_e32 v51, v50, v57
	v_fma_f32 v6, -0.5, v51, v6
	v_mov_b32_e32 v51, v6
	v_fmac_f32_e32 v51, 0xbf737871, v48
	v_fmac_f32_e32 v6, 0x3f737871, v48
	v_fmac_f32_e32 v51, 0x3f167918, v44
	v_fmac_f32_e32 v6, 0xbf167918, v44
	v_add_f32_e32 v44, v7, v32
	v_add_f32_e32 v44, v44, v38
	;; [unrolled: 1-line block ×5, first 2 shown]
	v_sub_f32_e32 v53, v52, v50
	v_sub_f32_e32 v55, v54, v57
	v_fma_f32 v61, -0.5, v44, v7
	v_add_f32_e32 v53, v53, v55
	v_sub_f32_e32 v44, v50, v57
	v_mov_b32_e32 v50, v61
	v_fmac_f32_e32 v51, 0x3e9e377a, v53
	v_fmac_f32_e32 v6, 0x3e9e377a, v53
	;; [unrolled: 1-line block ×3, first 2 shown]
	v_sub_f32_e32 v53, v52, v54
	v_sub_f32_e32 v52, v32, v38
	;; [unrolled: 1-line block ×3, first 2 shown]
	v_fmac_f32_e32 v61, 0x3f737871, v44
	v_fmac_f32_e32 v50, 0xbf167918, v53
	v_add_f32_e32 v52, v52, v54
	v_fmac_f32_e32 v61, 0x3f167918, v53
	v_fmac_f32_e32 v50, 0x3e9e377a, v52
	;; [unrolled: 1-line block ×3, first 2 shown]
	v_add_f32_e32 v52, v32, v46
	v_fmac_f32_e32 v7, -0.5, v52
	v_mov_b32_e32 v52, v7
	v_fmac_f32_e32 v52, 0x3f737871, v53
	v_sub_f32_e32 v32, v38, v32
	v_sub_f32_e32 v38, v39, v46
	v_fmac_f32_e32 v7, 0xbf737871, v53
	v_fmac_f32_e32 v52, 0xbf167918, v44
	v_add_f32_e32 v32, v32, v38
	v_fmac_f32_e32 v7, 0x3f167918, v44
	v_fmac_f32_e32 v52, 0x3e9e377a, v32
	;; [unrolled: 1-line block ×3, first 2 shown]
	v_add_f32_e32 v32, v0, v31
	v_add_f32_e32 v32, v32, v25
	v_add_f32_e32 v32, v32, v21
	v_add_f32_e32 v38, v32, v56
	v_add_f32_e32 v32, v25, v21
	v_fma_f32 v53, -0.5, v32, v0
	v_sub_f32_e32 v32, v24, v17
	v_mov_b32_e32 v55, v53
	v_fmac_f32_e32 v55, 0x3f737871, v32
	v_sub_f32_e32 v39, v20, v16
	v_sub_f32_e32 v44, v31, v25
	;; [unrolled: 1-line block ×3, first 2 shown]
	v_fmac_f32_e32 v53, 0xbf737871, v32
	v_fmac_f32_e32 v55, 0x3f167918, v39
	v_add_f32_e32 v44, v44, v46
	v_fmac_f32_e32 v53, 0xbf167918, v39
	v_fmac_f32_e32 v55, 0x3e9e377a, v44
	;; [unrolled: 1-line block ×3, first 2 shown]
	v_add_f32_e32 v44, v31, v56
	v_fma_f32 v0, -0.5, v44, v0
	v_add_f32_e32 v14, v14, v75
	v_mov_b32_e32 v75, v0
	v_fmac_f32_e32 v75, 0xbf737871, v39
	v_fmac_f32_e32 v0, 0x3f737871, v39
	;; [unrolled: 1-line block ×4, first 2 shown]
	v_add_f32_e32 v32, v1, v24
	v_add_f32_e32 v32, v32, v20
	;; [unrolled: 1-line block ×5, first 2 shown]
	v_fma_f32 v54, -0.5, v32, v1
	v_sub_f32_e32 v44, v25, v31
	v_sub_f32_e32 v46, v21, v56
	v_sub_f32_e32 v31, v31, v56
	v_mov_b32_e32 v56, v54
	v_fmac_f32_e32 v56, 0xbf737871, v31
	v_sub_f32_e32 v21, v25, v21
	v_sub_f32_e32 v25, v24, v20
	;; [unrolled: 1-line block ×3, first 2 shown]
	v_fmac_f32_e32 v54, 0x3f737871, v31
	v_fmac_f32_e32 v56, 0xbf167918, v21
	v_add_f32_e32 v25, v25, v32
	v_fmac_f32_e32 v54, 0x3f167918, v21
	v_fmac_f32_e32 v56, 0x3e9e377a, v25
	;; [unrolled: 1-line block ×3, first 2 shown]
	v_add_f32_e32 v25, v24, v17
	v_fma_f32 v1, -0.5, v25, v1
	v_sub_f32_e32 v20, v20, v24
	v_sub_f32_e32 v16, v16, v17
	v_add_f32_e32 v17, v79, v81
	v_add_f32_e32 v14, v14, v76
	v_mov_b32_e32 v76, v1
	v_add_f32_e32 v16, v20, v16
	v_fma_f32 v20, -0.5, v17, v2
	v_fmac_f32_e32 v76, 0x3f737871, v21
	v_fmac_f32_e32 v1, 0xbf737871, v21
	v_sub_f32_e32 v17, v78, v84
	v_mov_b32_e32 v24, v20
	v_fmac_f32_e32 v76, 0xbf167918, v31
	v_fmac_f32_e32 v1, 0x3f167918, v31
	;; [unrolled: 1-line block ×3, first 2 shown]
	v_sub_f32_e32 v21, v80, v82
	v_sub_f32_e32 v25, v77, v79
	;; [unrolled: 1-line block ×3, first 2 shown]
	v_fmac_f32_e32 v20, 0xbf737871, v17
	v_fmac_f32_e32 v24, 0x3f167918, v21
	v_add_f32_e32 v25, v25, v31
	v_fmac_f32_e32 v20, 0xbf167918, v21
	v_fmac_f32_e32 v24, 0x3e9e377a, v25
	;; [unrolled: 1-line block ×3, first 2 shown]
	v_add_f32_e32 v25, v77, v83
	v_fmac_f32_e32 v76, 0x3e9e377a, v16
	v_fmac_f32_e32 v1, 0x3e9e377a, v16
	v_add_f32_e32 v16, v2, v77
	v_fma_f32 v2, -0.5, v25, v2
	v_mov_b32_e32 v31, v2
	v_fmac_f32_e32 v31, 0xbf737871, v21
	v_sub_f32_e32 v25, v79, v77
	v_sub_f32_e32 v32, v81, v83
	v_fmac_f32_e32 v2, 0x3f737871, v21
	v_add_f32_e32 v21, v80, v82
	ds_write2_b64 v33, v[14:15], v[22:23] offset1:3
	ds_write2_b64 v33, v[26:27], v[8:9] offset0:6 offset1:9
	ds_write_b64 v33, v[18:19] offset:96
	v_mul_u32_u24_e32 v8, 15, v35
	v_add_f32_e32 v44, v44, v46
	v_fmac_f32_e32 v31, 0x3f167918, v17
	v_add_f32_e32 v25, v25, v32
	v_fmac_f32_e32 v2, 0xbf167918, v17
	v_fma_f32 v21, -0.5, v21, v3
	v_add_lshl_u32 v8, v8, v36, 3
	v_fmac_f32_e32 v75, 0x3e9e377a, v44
	v_fmac_f32_e32 v0, 0x3e9e377a, v44
	;; [unrolled: 1-line block ×4, first 2 shown]
	v_sub_f32_e32 v44, v77, v83
	v_mov_b32_e32 v25, v21
	buffer_store_dword v8, off, s[24:27], 0 offset:392 ; 4-byte Folded Spill
	ds_write2_b64 v8, v[28:29], v[66:67] offset1:3
	ds_write2_b64 v8, v[68:69], v[10:11] offset0:6 offset1:9
	ds_write_b64 v8, v[72:73] offset:96
	v_mad_legacy_u16 v8, v37, 15, v40
	v_fmac_f32_e32 v25, 0xbf737871, v44
	v_sub_f32_e32 v46, v79, v81
	v_sub_f32_e32 v32, v78, v80
	;; [unrolled: 1-line block ×3, first 2 shown]
	v_fmac_f32_e32 v21, 0x3f737871, v44
	v_lshlrev_b32_e32 v8, 3, v8
	v_fmac_f32_e32 v25, 0xbf167918, v46
	v_add_f32_e32 v32, v32, v57
	v_fmac_f32_e32 v21, 0x3f167918, v46
	buffer_store_dword v8, off, s[24:27], 0 offset:380 ; 4-byte Folded Spill
	ds_write2_b64 v8, v[58:59], v[64:65] offset1:3
	ds_write2_b64 v8, v[62:63], v[4:5] offset0:6 offset1:9
	ds_write_b64 v8, v[70:71] offset:96
	v_mad_legacy_u16 v4, v41, 15, v42
	v_fmac_f32_e32 v25, 0x3e9e377a, v32
	v_fmac_f32_e32 v21, 0x3e9e377a, v32
	v_add_f32_e32 v32, v78, v84
	v_lshlrev_b32_e32 v4, 3, v4
	v_add_f32_e32 v17, v3, v78
	v_fmac_f32_e32 v3, -0.5, v32
	buffer_store_dword v4, off, s[24:27], 0 offset:368 ; 4-byte Folded Spill
	ds_write2_b64 v4, v[47:48], v[49:50] offset1:3
	ds_write2_b64 v4, v[51:52], v[6:7] offset0:6 offset1:9
	ds_write_b64 v4, v[60:61] offset:96
	v_mad_legacy_u16 v4, v43, 15, v45
	v_add_f32_e32 v16, v16, v79
	v_add_f32_e32 v17, v17, v80
	v_mov_b32_e32 v32, v3
	v_lshlrev_b32_e32 v4, 3, v4
	v_add_f32_e32 v16, v16, v81
	v_add_f32_e32 v17, v17, v82
	v_fmac_f32_e32 v32, 0x3f737871, v46
	v_sub_f32_e32 v57, v80, v78
	v_sub_f32_e32 v77, v82, v84
	v_fmac_f32_e32 v3, 0xbf737871, v46
	buffer_store_dword v4, off, s[24:27], 0 offset:336 ; 4-byte Folded Spill
	ds_write2_b64 v4, v[38:39], v[55:56] offset1:3
	ds_write2_b64 v4, v[75:76], v[0:1] offset0:6 offset1:9
	ds_write_b64 v4, v[53:54] offset:96
	v_mad_legacy_u16 v0, v12, 15, v13
	v_add_f32_e32 v16, v16, v83
	v_add_f32_e32 v17, v17, v84
	v_fmac_f32_e32 v32, 0xbf167918, v44
	v_add_f32_e32 v57, v57, v77
	v_fmac_f32_e32 v3, 0x3f167918, v44
	v_lshlrev_b32_e32 v0, 3, v0
	v_fmac_f32_e32 v32, 0x3e9e377a, v57
	v_fmac_f32_e32 v3, 0x3e9e377a, v57
	buffer_store_dword v0, off, s[24:27], 0 offset:332 ; 4-byte Folded Spill
	ds_write2_b64 v0, v[16:17], v[24:25] offset1:3
	ds_write2_b64 v0, v[31:32], v[2:3] offset0:6 offset1:9
	ds_write_b64 v0, v[20:21] offset:96
	v_mul_lo_u16_sdwa v24, v160, s4 dst_sel:DWORD dst_unused:UNUSED_PAD src0_sel:BYTE_0 src1_sel:DWORD
	v_lshrrev_b16_e32 v88, 11, v24
	v_mul_lo_u16_e32 v24, 15, v88
	v_sub_u16_e32 v24, v160, v24
	v_and_b32_e32 v89, 0xff, v24
	v_lshlrev_b32_e32 v24, 5, v89
	s_waitcnt vmcnt(0) lgkmcnt(0)
	s_barrier
	ds_read2_b64 v[56:59], v74 offset1:125
	ds_read2_b64 v[0:3], v146 offset0:110 offset1:235
	ds_read2_b64 v[4:7], v149 offset0:92 offset1:217
	;; [unrolled: 1-line block ×14, first 2 shown]
	global_load_dwordx4 v[43:46], v24, s[10:11] offset:112
	global_load_dwordx4 v[75:78], v24, s[10:11] offset:96
	s_waitcnt vmcnt(0)
	buffer_store_dword v75, off, s[24:27], 0 offset:268 ; 4-byte Folded Spill
	s_nop 0
	buffer_store_dword v76, off, s[24:27], 0 offset:272 ; 4-byte Folded Spill
	buffer_store_dword v77, off, s[24:27], 0 offset:276 ; 4-byte Folded Spill
	;; [unrolled: 1-line block ×4, first 2 shown]
	s_nop 0
	buffer_store_dword v44, off, s[24:27], 0 offset:256 ; 4-byte Folded Spill
	buffer_store_dword v45, off, s[24:27], 0 offset:260 ; 4-byte Folded Spill
	buffer_store_dword v46, off, s[24:27], 0 offset:264 ; 4-byte Folded Spill
	v_mov_b32_e32 v153, v93
	v_mov_b32_e32 v154, v144
	;; [unrolled: 1-line block ×3, first 2 shown]
	s_waitcnt lgkmcnt(13)
	v_mul_f32_e32 v24, v1, v76
	v_fma_f32 v24, v0, v75, -v24
	v_mul_f32_e32 v28, v0, v76
	s_waitcnt lgkmcnt(12)
	v_mul_f32_e32 v0, v5, v78
	v_fma_f32 v29, v4, v77, -v0
	v_mul_f32_e32 v4, v4, v78
	s_waitcnt lgkmcnt(11)
	v_mul_f32_e32 v0, v9, v44
	v_fmac_f32_e32 v4, v5, v77
	v_fma_f32 v5, v8, v43, -v0
	v_mul_f32_e32 v8, v8, v44
	s_waitcnt lgkmcnt(10)
	v_mul_f32_e32 v0, v13, v46
	v_fmac_f32_e32 v8, v9, v43
	v_fma_f32 v9, v12, v45, -v0
	v_mul_lo_u16_sdwa v0, v205, s4 dst_sel:DWORD dst_unused:UNUSED_PAD src0_sel:BYTE_0 src1_sel:DWORD
	v_lshrrev_b16_e32 v86, 11, v0
	v_mul_lo_u16_e32 v0, 15, v86
	v_sub_u16_e32 v0, v205, v0
	v_and_b32_e32 v87, 0xff, v0
	v_mul_f32_e32 v12, v12, v46
	v_lshlrev_b32_e32 v0, 5, v87
	v_fmac_f32_e32 v28, v1, v75
	v_fmac_f32_e32 v12, v13, v45
	global_load_dwordx4 v[44:47], v0, s[10:11] offset:112
	global_load_dwordx4 v[75:78], v0, s[10:11] offset:96
	s_waitcnt vmcnt(0)
	buffer_store_dword v75, off, s[24:27], 0 offset:316 ; 4-byte Folded Spill
	s_nop 0
	buffer_store_dword v76, off, s[24:27], 0 offset:320 ; 4-byte Folded Spill
	buffer_store_dword v77, off, s[24:27], 0 offset:324 ; 4-byte Folded Spill
	;; [unrolled: 1-line block ×4, first 2 shown]
	s_nop 0
	buffer_store_dword v45, off, s[24:27], 0 offset:288 ; 4-byte Folded Spill
	buffer_store_dword v46, off, s[24:27], 0 offset:292 ; 4-byte Folded Spill
	;; [unrolled: 1-line block ×3, first 2 shown]
	s_mov_b32 s4, 0x8889
	v_mul_f32_e32 v0, v3, v76
	v_fma_f32 v13, v2, v75, -v0
	v_mul_f32_e32 v2, v2, v76
	v_mul_f32_e32 v0, v7, v78
	v_fmac_f32_e32 v2, v3, v75
	v_fma_f32 v3, v6, v77, -v0
	v_mul_f32_e32 v6, v6, v78
	v_mul_f32_e32 v0, v11, v45
	v_fmac_f32_e32 v6, v7, v77
	;; [unrolled: 4-line block ×3, first 2 shown]
	v_fma_f32 v11, v14, v46, -v0
	v_mul_u32_u24_sdwa v0, v206, s4 dst_sel:DWORD dst_unused:UNUSED_PAD src0_sel:WORD_0 src1_sel:DWORD
	v_lshrrev_b32_e32 v84, 19, v0
	v_mul_lo_u16_e32 v0, 15, v84
	v_sub_u16_e32 v85, v206, v0
	v_lshlrev_b16_e32 v0, 5, v85
	v_mul_f32_e32 v43, v14, v47
	v_add_co_u32_e32 v0, vcc, s10, v0
	v_mov_b32_e32 v47, s11
	v_addc_co_u32_e32 v1, vcc, 0, v47, vcc
	global_load_dwordx4 v[76:79], v[0:1], off offset:112
	global_load_dwordx4 v[80:83], v[0:1], off offset:96
	s_waitcnt vmcnt(0)
	buffer_store_dword v80, off, s[24:27], 0 offset:516 ; 4-byte Folded Spill
	s_nop 0
	buffer_store_dword v81, off, s[24:27], 0 offset:520 ; 4-byte Folded Spill
	buffer_store_dword v82, off, s[24:27], 0 offset:524 ; 4-byte Folded Spill
	;; [unrolled: 1-line block ×4, first 2 shown]
	s_nop 0
	buffer_store_dword v77, off, s[24:27], 0 offset:304 ; 4-byte Folded Spill
	buffer_store_dword v78, off, s[24:27], 0 offset:308 ; 4-byte Folded Spill
	;; [unrolled: 1-line block ×3, first 2 shown]
	v_fmac_f32_e32 v43, v15, v46
	s_waitcnt lgkmcnt(8)
	v_mul_f32_e32 v0, v17, v81
	v_fma_f32 v44, v16, v80, -v0
	s_waitcnt lgkmcnt(7)
	v_mul_f32_e32 v0, v21, v83
	v_fma_f32 v73, v20, v82, -v0
	;; [unrolled: 3-line block ×3, first 2 shown]
	v_mul_f32_e32 v31, v31, v77
	s_waitcnt lgkmcnt(5)
	v_mul_f32_e32 v0, v36, v79
	v_fmac_f32_e32 v31, v32, v76
	v_fma_f32 v32, v35, v78, -v0
	v_mul_u32_u24_sdwa v0, v30, s4 dst_sel:DWORD dst_unused:UNUSED_PAD src0_sel:WORD_0 src1_sel:DWORD
	v_lshrrev_b32_e32 v45, 19, v0
	v_mul_lo_u16_e32 v0, 15, v45
	v_sub_u16_e32 v46, v30, v0
	v_lshlrev_b16_e32 v0, 5, v46
	v_add_co_u32_e32 v0, vcc, s10, v0
	v_mul_f32_e32 v72, v16, v81
	v_addc_co_u32_e32 v1, vcc, 0, v47, vcc
	v_fmac_f32_e32 v72, v17, v80
	global_load_dwordx4 v[14:17], v[0:1], off offset:112
	global_load_dwordx4 v[250:253], v[0:1], off offset:96
	s_waitcnt vmcnt(1)
	buffer_store_dword v14, off, s[24:27], 0 offset:500 ; 4-byte Folded Spill
	s_nop 0
	buffer_store_dword v15, off, s[24:27], 0 offset:504 ; 4-byte Folded Spill
	buffer_store_dword v16, off, s[24:27], 0 offset:508 ; 4-byte Folded Spill
	;; [unrolled: 1-line block ×3, first 2 shown]
	v_mul_f32_e32 v35, v35, v79
	s_waitcnt vmcnt(4)
	v_mul_f32_e32 v0, v19, v251
	v_fmac_f32_e32 v35, v36, v78
	v_fma_f32 v36, v18, v250, -v0
	v_mul_f32_e32 v0, v23, v253
	v_fma_f32 v92, v22, v252, -v0
	v_mul_f32_e32 v75, v20, v83
	v_fmac_f32_e32 v75, v21, v82
	v_mul_f32_e32 v91, v18, v251
	v_fmac_f32_e32 v91, v19, v250
	;; [unrolled: 2-line block ×3, first 2 shown]
	v_mul_f32_e32 v0, v34, v15
	v_fma_f32 v94, v33, v14, -v0
	v_mul_f32_e32 v95, v33, v15
	v_mul_f32_e32 v0, v38, v17
	v_fmac_f32_e32 v95, v34, v14
	v_fma_f32 v34, v37, v16, -v0
	v_mul_u32_u24_sdwa v0, v189, s4 dst_sel:DWORD dst_unused:UNUSED_PAD src0_sel:WORD_0 src1_sel:DWORD
	v_lshrrev_b32_e32 v25, 19, v0
	v_mul_lo_u16_e32 v0, 15, v25
	v_sub_u16_e32 v26, v189, v0
	v_lshlrev_b16_e32 v0, 5, v26
	v_add_co_u32_e32 v0, vcc, s10, v0
	v_addc_co_u32_e32 v1, vcc, 0, v47, vcc
	global_load_dwordx4 v[246:249], v[0:1], off offset:112
	global_load_dwordx4 v[238:241], v[0:1], off offset:96
	v_mul_f32_e32 v37, v37, v17
	v_fmac_f32_e32 v37, v38, v16
	v_sub_f32_e32 v14, v24, v29
	v_sub_f32_e32 v15, v9, v5
	v_add_f32_e32 v14, v14, v15
	v_sub_f32_e32 v15, v5, v9
	s_waitcnt vmcnt(1) lgkmcnt(1)
	v_mul_f32_e32 v146, v64, v247
	s_waitcnt vmcnt(0)
	v_mul_f32_e32 v0, v40, v239
	v_fma_f32 v38, v39, v238, -v0
	v_mul_f32_e32 v39, v39, v239
	v_mul_f32_e32 v0, v61, v241
	v_fmac_f32_e32 v39, v40, v238
	v_fma_f32 v40, v60, v240, -v0
	v_mul_f32_e32 v0, v65, v247
	v_fma_f32 v145, v64, v246, -v0
	s_waitcnt lgkmcnt(0)
	v_mul_f32_e32 v0, v69, v249
	v_fmac_f32_e32 v146, v65, v246
	v_fma_f32 v65, v68, v248, -v0
	v_mul_u32_u24_sdwa v0, v188, s4 dst_sel:DWORD dst_unused:UNUSED_PAD src0_sel:WORD_0 src1_sel:DWORD
	v_lshrrev_b32_e32 v27, 19, v0
	v_mul_lo_u16_e32 v0, 15, v27
	v_sub_u16_e32 v33, v188, v0
	v_lshlrev_b16_e32 v0, 5, v33
	v_add_co_u32_e32 v0, vcc, s10, v0
	v_addc_co_u32_e32 v1, vcc, 0, v47, vcc
	global_load_dwordx4 v[242:245], v[0:1], off offset:112
	global_load_dwordx4 v[234:237], v[0:1], off offset:96
	v_sub_f32_e32 v1, v4, v8
	v_mul_f32_e32 v144, v60, v241
	v_mul_f32_e32 v68, v68, v249
	v_fmac_f32_e32 v68, v69, v248
	v_fmac_f32_e32 v144, v61, v240
	s_waitcnt vmcnt(0)
	s_barrier
	s_movk_i32 s4, 0x4b
	v_cmp_gt_u16_e32 vcc, s4, v160
	v_mul_f32_e32 v152, v70, v245
	v_mul_f32_e32 v0, v42, v235
	v_fma_f32 v147, v41, v234, -v0
	v_mul_f32_e32 v41, v41, v235
	v_mul_f32_e32 v0, v63, v237
	v_fmac_f32_e32 v41, v42, v234
	v_fma_f32 v42, v62, v236, -v0
	v_mul_f32_e32 v0, v67, v243
	v_fma_f32 v149, v66, v242, -v0
	v_mul_f32_e32 v0, v71, v245
	v_fma_f32 v151, v70, v244, -v0
	v_add_f32_e32 v0, v56, v24
	v_add_f32_e32 v0, v0, v29
	v_add_f32_e32 v0, v0, v5
	v_add_f32_e32 v80, v0, v9
	v_add_f32_e32 v0, v29, v5
	v_fma_f32 v16, -0.5, v0, v56
	v_sub_f32_e32 v0, v28, v12
	v_mov_b32_e32 v82, v16
	v_fmac_f32_e32 v82, 0x3f737871, v0
	v_fmac_f32_e32 v16, 0xbf737871, v0
	;; [unrolled: 1-line block ×6, first 2 shown]
	v_add_f32_e32 v14, v24, v9
	v_fma_f32 v18, -0.5, v14, v56
	v_mov_b32_e32 v20, v18
	v_fmac_f32_e32 v20, 0xbf737871, v1
	v_fmac_f32_e32 v18, 0x3f737871, v1
	;; [unrolled: 1-line block ×4, first 2 shown]
	v_add_f32_e32 v0, v57, v28
	v_add_f32_e32 v0, v0, v4
	;; [unrolled: 1-line block ×5, first 2 shown]
	v_fma_f32 v17, -0.5, v0, v57
	v_sub_f32_e32 v0, v24, v9
	v_mov_b32_e32 v83, v17
	v_fmac_f32_e32 v83, 0xbf737871, v0
	v_sub_f32_e32 v1, v29, v5
	v_sub_f32_e32 v5, v28, v4
	v_sub_f32_e32 v9, v12, v8
	v_fmac_f32_e32 v17, 0x3f737871, v0
	v_fmac_f32_e32 v83, 0xbf167918, v1
	v_add_f32_e32 v5, v5, v9
	v_fmac_f32_e32 v17, 0x3f167918, v1
	v_fmac_f32_e32 v83, 0x3e9e377a, v5
	;; [unrolled: 1-line block ×3, first 2 shown]
	v_add_f32_e32 v5, v28, v12
	v_fma_f32 v19, -0.5, v5, v57
	v_mov_b32_e32 v21, v19
	v_fmac_f32_e32 v21, 0x3f737871, v1
	v_fmac_f32_e32 v19, 0xbf737871, v1
	;; [unrolled: 1-line block ×4, first 2 shown]
	v_add_f32_e32 v0, v58, v13
	v_add_f32_e32 v0, v0, v3
	v_sub_f32_e32 v14, v29, v24
	v_add_f32_e32 v0, v0, v7
	v_add_f32_e32 v14, v14, v15
	v_add_f32_e32 v22, v0, v11
	v_add_f32_e32 v0, v3, v7
	v_fmac_f32_e32 v20, 0x3e9e377a, v14
	v_fmac_f32_e32 v18, 0x3e9e377a, v14
	v_sub_f32_e32 v4, v4, v28
	v_sub_f32_e32 v5, v8, v12
	v_fma_f32 v14, -0.5, v0, v58
	v_add_f32_e32 v4, v4, v5
	v_sub_f32_e32 v0, v2, v43
	v_mov_b32_e32 v76, v14
	v_fmac_f32_e32 v21, 0x3e9e377a, v4
	v_fmac_f32_e32 v19, 0x3e9e377a, v4
	;; [unrolled: 1-line block ×3, first 2 shown]
	v_sub_f32_e32 v1, v6, v10
	v_sub_f32_e32 v4, v13, v3
	;; [unrolled: 1-line block ×3, first 2 shown]
	v_fmac_f32_e32 v14, 0xbf737871, v0
	v_fmac_f32_e32 v76, 0x3f167918, v1
	v_add_f32_e32 v4, v4, v5
	v_fmac_f32_e32 v14, 0xbf167918, v1
	v_fmac_f32_e32 v76, 0x3e9e377a, v4
	;; [unrolled: 1-line block ×3, first 2 shown]
	v_add_f32_e32 v4, v13, v11
	v_fma_f32 v58, -0.5, v4, v58
	v_mov_b32_e32 v78, v58
	v_fmac_f32_e32 v78, 0xbf737871, v1
	v_fmac_f32_e32 v58, 0x3f737871, v1
	;; [unrolled: 1-line block ×4, first 2 shown]
	v_add_f32_e32 v0, v59, v2
	v_add_f32_e32 v0, v0, v6
	;; [unrolled: 1-line block ×5, first 2 shown]
	v_sub_f32_e32 v4, v3, v13
	v_sub_f32_e32 v5, v7, v11
	v_fma_f32 v15, -0.5, v0, v59
	v_add_f32_e32 v4, v4, v5
	v_sub_f32_e32 v0, v13, v11
	v_mov_b32_e32 v77, v15
	v_fmac_f32_e32 v78, 0x3e9e377a, v4
	v_fmac_f32_e32 v58, 0x3e9e377a, v4
	;; [unrolled: 1-line block ×3, first 2 shown]
	v_sub_f32_e32 v1, v3, v7
	v_sub_f32_e32 v3, v2, v6
	;; [unrolled: 1-line block ×3, first 2 shown]
	v_fmac_f32_e32 v15, 0x3f737871, v0
	v_fmac_f32_e32 v77, 0xbf167918, v1
	v_add_f32_e32 v3, v3, v4
	v_fmac_f32_e32 v15, 0x3f167918, v1
	v_fmac_f32_e32 v77, 0x3e9e377a, v3
	;; [unrolled: 1-line block ×3, first 2 shown]
	v_add_f32_e32 v3, v2, v43
	v_fmac_f32_e32 v59, -0.5, v3
	v_mov_b32_e32 v79, v59
	v_fmac_f32_e32 v79, 0x3f737871, v1
	v_fmac_f32_e32 v59, 0xbf737871, v1
	;; [unrolled: 1-line block ×4, first 2 shown]
	v_add_f32_e32 v0, v52, v44
	v_add_f32_e32 v0, v0, v73
	;; [unrolled: 1-line block ×3, first 2 shown]
	v_sub_f32_e32 v3, v10, v43
	v_add_f32_e32 v10, v0, v32
	v_add_f32_e32 v0, v73, v90
	v_sub_f32_e32 v2, v6, v2
	v_fma_f32 v4, -0.5, v0, v52
	v_add_f32_e32 v2, v2, v3
	v_sub_f32_e32 v0, v72, v35
	v_mov_b32_e32 v12, v4
	v_fmac_f32_e32 v79, 0x3e9e377a, v2
	v_fmac_f32_e32 v59, 0x3e9e377a, v2
	;; [unrolled: 1-line block ×3, first 2 shown]
	v_sub_f32_e32 v1, v75, v31
	v_sub_f32_e32 v2, v44, v73
	;; [unrolled: 1-line block ×3, first 2 shown]
	v_fmac_f32_e32 v4, 0xbf737871, v0
	v_fmac_f32_e32 v12, 0x3f167918, v1
	v_add_f32_e32 v2, v2, v3
	v_fmac_f32_e32 v4, 0xbf167918, v1
	v_fmac_f32_e32 v12, 0x3e9e377a, v2
	v_fmac_f32_e32 v4, 0x3e9e377a, v2
	v_add_f32_e32 v2, v44, v32
	v_fma_f32 v6, -0.5, v2, v52
	v_mov_b32_e32 v8, v6
	v_fmac_f32_e32 v8, 0xbf737871, v1
	v_fmac_f32_e32 v6, 0x3f737871, v1
	;; [unrolled: 1-line block ×4, first 2 shown]
	v_add_f32_e32 v0, v53, v72
	v_add_f32_e32 v0, v0, v75
	;; [unrolled: 1-line block ×5, first 2 shown]
	v_sub_f32_e32 v2, v73, v44
	v_sub_f32_e32 v3, v90, v32
	v_fma_f32 v5, -0.5, v0, v53
	v_add_f32_e32 v2, v2, v3
	v_sub_f32_e32 v0, v44, v32
	v_mov_b32_e32 v13, v5
	v_fmac_f32_e32 v8, 0x3e9e377a, v2
	v_fmac_f32_e32 v6, 0x3e9e377a, v2
	;; [unrolled: 1-line block ×3, first 2 shown]
	v_sub_f32_e32 v1, v73, v90
	v_sub_f32_e32 v2, v72, v75
	;; [unrolled: 1-line block ×3, first 2 shown]
	v_fmac_f32_e32 v5, 0x3f737871, v0
	v_fmac_f32_e32 v13, 0xbf167918, v1
	v_add_f32_e32 v2, v2, v3
	v_fmac_f32_e32 v5, 0x3f167918, v1
	v_fmac_f32_e32 v13, 0x3e9e377a, v2
	;; [unrolled: 1-line block ×3, first 2 shown]
	v_add_f32_e32 v2, v72, v35
	v_fma_f32 v7, -0.5, v2, v53
	v_mov_b32_e32 v9, v7
	v_fmac_f32_e32 v9, 0x3f737871, v1
	v_fmac_f32_e32 v7, 0xbf737871, v1
	;; [unrolled: 1-line block ×4, first 2 shown]
	v_add_f32_e32 v0, v54, v36
	v_add_f32_e32 v0, v0, v92
	;; [unrolled: 1-line block ×3, first 2 shown]
	v_sub_f32_e32 v3, v31, v35
	v_add_f32_e32 v31, v0, v34
	v_add_f32_e32 v0, v92, v94
	v_sub_f32_e32 v2, v75, v72
	v_fma_f32 v52, -0.5, v0, v54
	v_add_f32_e32 v2, v2, v3
	v_sub_f32_e32 v1, v91, v37
	v_mov_b32_e32 v0, v52
	v_fmac_f32_e32 v9, 0x3e9e377a, v2
	v_fmac_f32_e32 v7, 0x3e9e377a, v2
	;; [unrolled: 1-line block ×3, first 2 shown]
	v_sub_f32_e32 v3, v93, v95
	v_sub_f32_e32 v2, v36, v92
	;; [unrolled: 1-line block ×3, first 2 shown]
	v_fmac_f32_e32 v52, 0xbf737871, v1
	v_fmac_f32_e32 v0, 0x3f167918, v3
	v_add_f32_e32 v2, v2, v24
	v_fmac_f32_e32 v52, 0xbf167918, v3
	v_fmac_f32_e32 v0, 0x3e9e377a, v2
	;; [unrolled: 1-line block ×3, first 2 shown]
	v_add_f32_e32 v2, v36, v34
	v_fma_f32 v54, -0.5, v2, v54
	v_mov_b32_e32 v2, v54
	v_fmac_f32_e32 v2, 0xbf737871, v3
	v_fmac_f32_e32 v54, 0x3f737871, v3
	;; [unrolled: 1-line block ×4, first 2 shown]
	v_add_f32_e32 v1, v55, v91
	v_add_f32_e32 v1, v1, v93
	;; [unrolled: 1-line block ×3, first 2 shown]
	v_sub_f32_e32 v24, v92, v36
	v_sub_f32_e32 v28, v94, v34
	v_add_f32_e32 v32, v1, v37
	v_add_f32_e32 v1, v93, v95
	;; [unrolled: 1-line block ×3, first 2 shown]
	v_fma_f32 v53, -0.5, v1, v55
	v_fmac_f32_e32 v2, 0x3e9e377a, v24
	v_fmac_f32_e32 v54, 0x3e9e377a, v24
	v_sub_f32_e32 v24, v36, v34
	v_mov_b32_e32 v1, v53
	v_fmac_f32_e32 v1, 0xbf737871, v24
	v_sub_f32_e32 v28, v92, v94
	v_sub_f32_e32 v3, v91, v93
	;; [unrolled: 1-line block ×3, first 2 shown]
	v_fmac_f32_e32 v53, 0x3f737871, v24
	v_fmac_f32_e32 v1, 0xbf167918, v28
	v_add_f32_e32 v3, v3, v29
	v_fmac_f32_e32 v53, 0x3f167918, v28
	v_fmac_f32_e32 v1, 0x3e9e377a, v3
	;; [unrolled: 1-line block ×3, first 2 shown]
	v_add_f32_e32 v3, v91, v37
	v_fmac_f32_e32 v55, -0.5, v3
	v_mov_b32_e32 v3, v55
	v_fmac_f32_e32 v3, 0x3f737871, v28
	v_fmac_f32_e32 v55, 0xbf737871, v28
	;; [unrolled: 1-line block ×4, first 2 shown]
	v_add_f32_e32 v24, v48, v38
	v_add_f32_e32 v24, v24, v40
	;; [unrolled: 1-line block ×5, first 2 shown]
	v_sub_f32_e32 v29, v93, v91
	v_sub_f32_e32 v34, v95, v37
	v_fma_f32 v56, -0.5, v24, v48
	v_mul_f32_e32 v148, v62, v237
	v_add_f32_e32 v29, v29, v34
	v_sub_f32_e32 v24, v39, v68
	v_mov_b32_e32 v62, v56
	v_fmac_f32_e32 v3, 0x3e9e377a, v29
	v_fmac_f32_e32 v55, 0x3e9e377a, v29
	v_fmac_f32_e32 v62, 0x3f737871, v24
	v_sub_f32_e32 v28, v144, v146
	v_sub_f32_e32 v29, v38, v40
	;; [unrolled: 1-line block ×3, first 2 shown]
	v_fmac_f32_e32 v56, 0xbf737871, v24
	v_fmac_f32_e32 v62, 0x3f167918, v28
	v_add_f32_e32 v29, v29, v34
	v_fmac_f32_e32 v56, 0xbf167918, v28
	v_fmac_f32_e32 v62, 0x3e9e377a, v29
	v_fmac_f32_e32 v56, 0x3e9e377a, v29
	v_add_f32_e32 v29, v38, v65
	v_fma_f32 v48, -0.5, v29, v48
	v_mov_b32_e32 v64, v48
	v_fmac_f32_e32 v64, 0xbf737871, v28
	v_fmac_f32_e32 v48, 0x3f737871, v28
	;; [unrolled: 1-line block ×4, first 2 shown]
	v_add_f32_e32 v24, v49, v39
	v_add_f32_e32 v24, v24, v144
	;; [unrolled: 1-line block ×5, first 2 shown]
	v_sub_f32_e32 v29, v40, v38
	v_sub_f32_e32 v34, v145, v65
	v_fma_f32 v57, -0.5, v24, v49
	v_fmac_f32_e32 v148, v63, v236
	v_add_f32_e32 v29, v29, v34
	v_sub_f32_e32 v24, v38, v65
	v_mov_b32_e32 v63, v57
	v_fmac_f32_e32 v64, 0x3e9e377a, v29
	v_fmac_f32_e32 v48, 0x3e9e377a, v29
	;; [unrolled: 1-line block ×3, first 2 shown]
	v_sub_f32_e32 v28, v40, v145
	v_sub_f32_e32 v29, v39, v144
	;; [unrolled: 1-line block ×3, first 2 shown]
	v_fmac_f32_e32 v57, 0x3f737871, v24
	v_fmac_f32_e32 v63, 0xbf167918, v28
	v_add_f32_e32 v29, v29, v34
	v_fmac_f32_e32 v57, 0x3f167918, v28
	v_fmac_f32_e32 v63, 0x3e9e377a, v29
	;; [unrolled: 1-line block ×3, first 2 shown]
	v_add_f32_e32 v29, v39, v68
	v_fma_f32 v49, -0.5, v29, v49
	v_mov_b32_e32 v65, v49
	v_fmac_f32_e32 v65, 0x3f737871, v28
	v_fmac_f32_e32 v49, 0xbf737871, v28
	;; [unrolled: 1-line block ×4, first 2 shown]
	v_add_f32_e32 v24, v50, v147
	v_add_f32_e32 v24, v24, v42
	;; [unrolled: 1-line block ×3, first 2 shown]
	v_sub_f32_e32 v34, v146, v68
	v_add_f32_e32 v68, v24, v151
	v_add_f32_e32 v24, v42, v149
	v_mul_f32_e32 v150, v66, v243
	v_fmac_f32_e32 v152, v71, v244
	v_sub_f32_e32 v29, v144, v39
	v_fma_f32 v66, -0.5, v24, v50
	v_fmac_f32_e32 v150, v67, v242
	v_add_f32_e32 v29, v29, v34
	v_sub_f32_e32 v24, v41, v152
	v_mov_b32_e32 v70, v66
	v_fmac_f32_e32 v65, 0x3e9e377a, v29
	v_fmac_f32_e32 v49, 0x3e9e377a, v29
	;; [unrolled: 1-line block ×3, first 2 shown]
	v_sub_f32_e32 v28, v148, v150
	v_sub_f32_e32 v29, v147, v42
	;; [unrolled: 1-line block ×3, first 2 shown]
	v_fmac_f32_e32 v66, 0xbf737871, v24
	v_fmac_f32_e32 v70, 0x3f167918, v28
	v_add_f32_e32 v29, v29, v34
	v_fmac_f32_e32 v66, 0xbf167918, v28
	v_fmac_f32_e32 v70, 0x3e9e377a, v29
	;; [unrolled: 1-line block ×3, first 2 shown]
	v_add_f32_e32 v29, v147, v151
	v_fma_f32 v50, -0.5, v29, v50
	v_mov_b32_e32 v72, v50
	v_fmac_f32_e32 v72, 0xbf737871, v28
	v_fmac_f32_e32 v50, 0x3f737871, v28
	;; [unrolled: 1-line block ×4, first 2 shown]
	v_add_f32_e32 v24, v51, v41
	v_add_f32_e32 v24, v24, v148
	;; [unrolled: 1-line block ×5, first 2 shown]
	v_sub_f32_e32 v29, v42, v147
	v_sub_f32_e32 v34, v149, v151
	v_fma_f32 v67, -0.5, v24, v51
	v_add_f32_e32 v29, v29, v34
	v_sub_f32_e32 v24, v147, v151
	v_mov_b32_e32 v71, v67
	v_fmac_f32_e32 v72, 0x3e9e377a, v29
	v_fmac_f32_e32 v50, 0x3e9e377a, v29
	;; [unrolled: 1-line block ×3, first 2 shown]
	v_sub_f32_e32 v28, v42, v149
	v_sub_f32_e32 v29, v41, v148
	v_sub_f32_e32 v34, v152, v150
	v_fmac_f32_e32 v67, 0x3f737871, v24
	v_fmac_f32_e32 v71, 0xbf167918, v28
	v_add_f32_e32 v29, v29, v34
	v_fmac_f32_e32 v67, 0x3f167918, v28
	v_fmac_f32_e32 v71, 0x3e9e377a, v29
	;; [unrolled: 1-line block ×3, first 2 shown]
	v_add_f32_e32 v29, v41, v152
	v_fmac_f32_e32 v51, -0.5, v29
	v_mov_b32_e32 v73, v51
	v_fmac_f32_e32 v73, 0x3f737871, v28
	v_fmac_f32_e32 v51, 0xbf737871, v28
	;; [unrolled: 1-line block ×4, first 2 shown]
	v_mul_u32_u24_e32 v24, 0x4b, v88
	v_add_lshl_u32 v24, v24, v89, 3
	ds_write2_b64 v24, v[80:81], v[82:83] offset1:15
	buffer_store_dword v24, off, s[24:27], 0 offset:340 ; 4-byte Folded Spill
	ds_write2_b64 v24, v[20:21], v[18:19] offset0:30 offset1:45
	ds_write_b64 v24, v[16:17] offset:480
	v_mul_u32_u24_e32 v16, 0x4b, v86
	v_add_lshl_u32 v16, v16, v87, 3
	ds_write2_b64 v16, v[22:23], v[76:77] offset1:15
	ds_write2_b64 v16, v[78:79], v[58:59] offset0:30 offset1:45
	ds_write_b64 v16, v[14:15] offset:480
	v_mad_legacy_u16 v14, v84, s4, v85
	v_lshlrev_b32_e32 v14, 3, v14
	buffer_store_dword v16, off, s[24:27], 0 offset:364 ; 4-byte Folded Spill
	ds_write2_b64 v14, v[10:11], v[12:13] offset1:15
	ds_write2_b64 v14, v[8:9], v[6:7] offset0:30 offset1:45
	ds_write_b64 v14, v[4:5] offset:480
	v_mad_legacy_u16 v4, v45, s4, v46
	v_lshlrev_b32_e32 v4, 3, v4
	buffer_store_dword v14, off, s[24:27], 0 offset:248 ; 4-byte Folded Spill
	ds_write2_b64 v4, v[31:32], v[0:1] offset1:15
	ds_write2_b64 v4, v[2:3], v[54:55] offset0:30 offset1:45
	v_mad_legacy_u16 v0, v25, s4, v26
	v_lshlrev_b32_e32 v0, 3, v0
	v_sub_f32_e32 v29, v148, v41
	v_sub_f32_e32 v34, v150, v152
	buffer_store_dword v4, off, s[24:27], 0 offset:344 ; 4-byte Folded Spill
	ds_write_b64 v4, v[52:53] offset:480
	buffer_store_dword v0, off, s[24:27], 0 offset:348 ; 4-byte Folded Spill
	ds_write2_b64 v0, v[60:61], v[62:63] offset1:15
	ds_write2_b64 v0, v[64:65], v[48:49] offset0:30 offset1:45
	ds_write_b64 v0, v[56:57] offset:480
	v_mad_legacy_u16 v0, v27, s4, v33
	v_add_f32_e32 v29, v29, v34
	v_lshlrev_b32_e32 v0, 3, v0
	v_fmac_f32_e32 v73, 0x3e9e377a, v29
	v_fmac_f32_e32 v51, 0x3e9e377a, v29
	buffer_store_dword v0, off, s[24:27], 0 offset:352 ; 4-byte Folded Spill
	ds_write2_b64 v0, v[68:69], v[70:71] offset1:15
	ds_write2_b64 v0, v[72:73], v[50:51] offset0:30 offset1:45
	ds_write_b64 v0, v[66:67] offset:480
	v_add_u32_e32 v0, 0xffffffb5, v160
	v_cndmask_b32_e32 v27, v0, v160, vcc
	v_mul_i32_i24_e32 v0, 0x48, v27
	v_mul_hi_i32_i24_e32 v1, 0x48, v27
	v_add_co_u32_e32 v0, vcc, s10, v0
	v_addc_co_u32_e32 v1, vcc, v47, v1, vcc
	s_waitcnt vmcnt(0) lgkmcnt(0)
	s_barrier
	ds_read2_b64 v[148:151], v74 offset1:125
	ds_read2_b64 v[144:147], v166 offset0:122 offset1:247
	v_mov_b32_e32 v57, v166
	v_mov_b32_e32 v59, v157
	ds_read2_b64 v[4:7], v157 offset0:110 offset1:235
	v_mov_b32_e32 v54, v154
	ds_read2_b64 v[37:40], v154 offset0:104 offset1:229
	ds_read2_b64 v[20:23], v161 offset0:92 offset1:217
	;; [unrolled: 1-line block ×3, first 2 shown]
	v_mov_b32_e32 v65, v159
	v_mov_b32_e32 v53, v155
	ds_read2_b64 v[70:73], v155 offset0:74 offset1:199
	ds_read2_b64 v[166:169], v162 offset0:68 offset1:193
	;; [unrolled: 1-line block ×3, first 2 shown]
	v_mov_b32_e32 v60, v158
	v_mov_b32_e32 v58, v156
	ds_read2_b64 v[156:159], v156 offset0:50 offset1:175
	ds_read2_b64 v[170:173], v174 offset0:116 offset1:241
	v_mov_b32_e32 v56, v174
	ds_read2_b64 v[174:177], v153 offset0:98 offset1:223
	ds_read2_b64 v[178:181], v165 offset0:80 offset1:205
	;; [unrolled: 1-line block ×4, first 2 shown]
	global_load_dwordx4 v[230:233], v[0:1], off offset:624
	global_load_dwordx4 v[224:227], v[0:1], off offset:608
	;; [unrolled: 1-line block ×4, first 2 shown]
	s_movk_i32 s4, 0x48
	v_mov_b32_e32 v52, v160
	v_mov_b32_e32 v66, v161
	s_waitcnt vmcnt(3) lgkmcnt(6)
	v_mul_f32_e32 v36, v78, v233
	s_waitcnt vmcnt(2)
	v_mul_f32_e32 v11, v43, v225
	s_waitcnt vmcnt(1)
	;; [unrolled: 2-line block ×3, first 2 shown]
	v_mul_f32_e32 v8, v5, v64
	v_fma_f32 v24, v4, v63, -v8
	v_mul_f32_e32 v31, v4, v64
	v_mul_f32_e32 v4, v40, v221
	v_fma_f32 v18, v39, v220, -v4
	v_mul_f32_e32 v4, v21, v223
	v_fma_f32 v39, v20, v222, -v4
	;; [unrolled: 2-line block ×3, first 2 shown]
	v_mul_f32_e32 v4, v71, v227
	v_fmac_f32_e32 v10, v40, v220
	v_fma_f32 v40, v70, v226, -v4
	v_mul_f32_e32 v4, v169, v231
	v_mul_f32_e32 v32, v20, v223
	v_fma_f32 v20, v168, v230, -v4
	v_mul_f32_e32 v4, v79, v233
	v_fmac_f32_e32 v31, v5, v63
	v_fma_f32 v43, v78, v232, -v4
	global_load_dwordx2 v[4:5], v[0:1], off offset:640
	s_waitcnt vmcnt(0)
	buffer_store_dword v4, off, s[24:27], 0 offset:356 ; 4-byte Folded Spill
	s_nop 0
	buffer_store_dword v5, off, s[24:27], 0 offset:360 ; 4-byte Folded Spill
	v_fmac_f32_e32 v32, v21, v222
	v_mul_f32_e32 v35, v70, v227
	v_fmac_f32_e32 v36, v79, v232
	v_mul_f32_e32 v2, v147, v62
	v_fma_f32 v2, v146, v61, -v2
	v_mul_f32_e32 v3, v146, v62
	v_fmac_f32_e32 v35, v71, v226
	v_fmac_f32_e32 v11, v44, v224
	v_sub_f32_e32 v44, v43, v40
	v_sub_f32_e32 v48, v39, v24
	;; [unrolled: 1-line block ×3, first 2 shown]
	v_add_f32_e32 v48, v48, v49
	v_mul_f32_e32 v14, v168, v231
	v_fmac_f32_e32 v14, v169, v230
	v_fmac_f32_e32 v3, v147, v61
	v_mov_b32_e32 v71, v207
	s_waitcnt lgkmcnt(5)
	v_mul_f32_e32 v0, v159, v5
	v_fma_f32 v21, v158, v4, -v0
	v_mul_lo_u16_sdwa v0, v205, s5 dst_sel:DWORD dst_unused:UNUSED_PAD src0_sel:BYTE_0 src1_sel:DWORD
	v_lshrrev_b16_e32 v25, 14, v0
	v_mul_lo_u16_e32 v0, 0x4b, v25
	v_sub_u16_e32 v0, v205, v0
	v_and_b32_e32 v26, 0xff, v0
	v_mov_b32_e32 v0, s10
	v_mov_b32_e32 v1, s11
	v_mad_u64_u32 v[28:29], s[4:5], v26, s4, v[0:1]
	global_load_dwordx4 v[216:219], v[28:29], off offset:624
	global_load_dwordx4 v[212:215], v[28:29], off offset:608
	;; [unrolled: 1-line block ×4, first 2 shown]
	v_mul_f32_e32 v17, v158, v5
	v_fmac_f32_e32 v17, v159, v4
	s_mov_b32 s4, 0xb4e9
	v_sub_f32_e32 v49, v21, v20
	v_sub_f32_e32 v50, v20, v21
	s_waitcnt vmcnt(3)
	v_mul_f32_e32 v15, v81, v219
	v_fma_f32 v165, v80, v218, -v15
	s_waitcnt vmcnt(1)
	v_mul_f32_e32 v16, v22, v70
	s_waitcnt vmcnt(0)
	v_mul_f32_e32 v4, v7, v79
	v_fma_f32 v13, v6, v78, -v4
	v_mul_f32_e32 v9, v6, v79
	v_mul_f32_e32 v6, v23, v70
	v_fma_f32 v160, v22, v69, -v6
	v_fmac_f32_e32 v16, v23, v69
	global_load_dwordx2 v[22:23], v[28:29], off offset:640
	s_waitcnt vmcnt(0)
	buffer_store_dword v22, off, s[24:27], 0 offset:372 ; 4-byte Folded Spill
	s_nop 0
	buffer_store_dword v23, off, s[24:27], 0 offset:376 ; 4-byte Folded Spill
	v_mul_f32_e32 v164, v80, v219
	v_fmac_f32_e32 v164, v81, v218
	s_waitcnt lgkmcnt(2)
	v_mul_f32_e32 v6, v179, v213
	v_mul_f32_e32 v8, v73, v215
	v_fmac_f32_e32 v9, v7, v78
	v_fma_f32 v7, v178, v212, -v6
	v_mul_f32_e32 v6, v178, v213
	v_fma_f32 v163, v72, v214, -v8
	v_fmac_f32_e32 v6, v179, v212
	v_mul_f32_e32 v0, v171, v77
	v_mul_f32_e32 v162, v72, v215
	v_fma_f32 v0, v170, v76, -v0
	v_mul_f32_e32 v1, v170, v77
	v_mul_f32_e32 v4, v175, v68
	v_fmac_f32_e32 v162, v73, v214
	v_fma_f32 v5, v174, v67, -v4
	v_mul_f32_e32 v4, v174, v68
	v_fmac_f32_e32 v4, v175, v67
	v_fmac_f32_e32 v1, v171, v76
	s_waitcnt lgkmcnt(1)
	v_mul_f32_e32 v8, v191, v217
	v_fma_f32 v12, v190, v216, -v8
	v_mul_f32_e32 v8, v190, v217
	v_fmac_f32_e32 v8, v191, v216
	s_waitcnt lgkmcnt(0)
	v_mul_f32_e32 v15, v153, v23
	v_fma_f32 v161, v152, v22, -v15
	v_mul_f32_e32 v15, v152, v23
	v_fmac_f32_e32 v15, v153, v22
	v_mul_u32_u24_sdwa v22, v206, s4 dst_sel:DWORD dst_unused:UNUSED_PAD src0_sel:WORD_0 src1_sel:DWORD
	v_sub_u16_sdwa v23, v206, v22 dst_sel:DWORD dst_unused:UNUSED_PAD src0_sel:DWORD src1_sel:WORD_1
	v_lshrrev_b16_e32 v23, 1, v23
	v_add_u16_sdwa v22, v23, v22 dst_sel:DWORD dst_unused:UNUSED_PAD src0_sel:DWORD src1_sel:WORD_1
	v_lshrrev_b16_e32 v22, 6, v22
	v_mul_lo_u16_e32 v23, 0x4b, v22
	v_sub_u16_e32 v23, v206, v23
	v_mul_lo_u16_e32 v28, 0x48, v23
	v_add_co_u32_e32 v28, vcc, s10, v28
	v_addc_co_u32_e32 v29, vcc, 0, v47, vcc
	global_load_dwordx4 v[80:83], v[28:29], off offset:624
	global_load_dwordx4 v[84:87], v[28:29], off offset:608
	;; [unrolled: 1-line block ×4, first 2 shown]
	s_movk_i32 s4, 0x4a
	v_cmp_lt_u16_e32 vcc, s4, v52
	s_waitcnt vmcnt(3)
	v_mul_f32_e32 v187, v156, v83
	s_waitcnt vmcnt(2)
	v_mul_f32_e32 v185, v166, v87
	;; [unrolled: 2-line block ×4, first 2 shown]
	v_mul_f32_e32 v152, v37, v95
	v_fma_f32 v158, v37, v94, -v34
	v_fmac_f32_e32 v152, v38, v94
	global_load_dwordx2 v[37:38], v[28:29], off offset:640
	s_waitcnt vmcnt(0)
	buffer_store_dword v37, off, s[24:27], 0 offset:384 ; 4-byte Folded Spill
	s_nop 0
	buffer_store_dword v38, off, s[24:27], 0 offset:388 ; 4-byte Folded Spill
	v_mul_f32_e32 v34, v177, v89
	v_fma_f32 v146, v176, v88, -v34
	v_mul_f32_e32 v34, v42, v91
	v_fma_f32 v184, v41, v90, -v34
	;; [unrolled: 2-line block ×5, first 2 shown]
	v_mul_f32_e32 v34, v157, v83
	v_add_f32_e32 v29, v39, v40
	v_fma_f32 v34, v156, v82, -v34
	v_fma_f32 v29, -0.5, v29, v148
	v_fmac_f32_e32 v182, v42, v90
	v_sub_f32_e32 v41, v32, v35
	v_sub_f32_e32 v42, v24, v39
	v_add_f32_e32 v42, v42, v44
	v_fmac_f32_e32 v185, v167, v86
	v_mul_f32_e32 v33, v173, v93
	v_fma_f32 v33, v172, v92, -v33
	v_mul_f32_e32 v45, v172, v93
	v_mul_f32_e32 v46, v176, v89
	;; [unrolled: 1-line block ×3, first 2 shown]
	v_fmac_f32_e32 v147, v181, v84
	v_fmac_f32_e32 v45, v173, v92
	;; [unrolled: 1-line block ×4, first 2 shown]
	v_mul_f32_e32 v159, v192, v81
	v_fmac_f32_e32 v159, v193, v80
	s_waitcnt vmcnt(0)
	s_barrier
	buffer_store_dword v52, off, s[24:27], 0 offset:440 ; 4-byte Folded Spill
	v_mul_f32_e32 v28, v155, v38
	v_fma_f32 v156, v154, v37, -v28
	v_mul_f32_e32 v154, v154, v38
	v_fmac_f32_e32 v154, v155, v37
	v_sub_f32_e32 v37, v31, v36
	v_mov_b32_e32 v38, v29
	v_fmac_f32_e32 v38, 0x3f737871, v37
	v_fmac_f32_e32 v29, 0xbf737871, v37
	;; [unrolled: 1-line block ×6, first 2 shown]
	v_add_f32_e32 v42, v24, v43
	v_fma_f32 v42, -0.5, v42, v148
	v_add_f32_e32 v28, v148, v24
	v_mov_b32_e32 v44, v42
	v_add_f32_e32 v28, v28, v39
	v_fmac_f32_e32 v44, 0xbf737871, v41
	v_fmac_f32_e32 v42, 0x3f737871, v41
	v_add_f32_e32 v41, v32, v35
	v_add_f32_e32 v28, v28, v40
	v_fma_f32 v41, -0.5, v41, v149
	v_add_f32_e32 v28, v28, v43
	v_fmac_f32_e32 v44, 0x3f167918, v37
	v_fmac_f32_e32 v42, 0xbf167918, v37
	v_sub_f32_e32 v24, v24, v43
	v_mov_b32_e32 v43, v41
	v_fmac_f32_e32 v44, 0x3e9e377a, v48
	v_fmac_f32_e32 v42, 0x3e9e377a, v48
	;; [unrolled: 1-line block ×3, first 2 shown]
	v_sub_f32_e32 v39, v39, v40
	v_sub_f32_e32 v40, v31, v32
	;; [unrolled: 1-line block ×3, first 2 shown]
	v_fmac_f32_e32 v41, 0x3f737871, v24
	v_fmac_f32_e32 v43, 0xbf167918, v39
	v_add_f32_e32 v40, v40, v48
	v_fmac_f32_e32 v41, 0x3f167918, v39
	v_fmac_f32_e32 v43, 0x3e9e377a, v40
	;; [unrolled: 1-line block ×3, first 2 shown]
	v_add_f32_e32 v40, v31, v36
	v_fma_f32 v40, -0.5, v40, v149
	v_add_f32_e32 v37, v149, v31
	v_mov_b32_e32 v48, v40
	v_add_f32_e32 v37, v37, v32
	v_fmac_f32_e32 v48, 0x3f737871, v39
	v_sub_f32_e32 v31, v32, v31
	v_sub_f32_e32 v32, v35, v36
	v_fmac_f32_e32 v40, 0xbf737871, v39
	v_fmac_f32_e32 v48, 0xbf167918, v24
	v_add_f32_e32 v31, v31, v32
	v_fmac_f32_e32 v40, 0x3f167918, v24
	v_fmac_f32_e32 v48, 0x3e9e377a, v31
	v_fmac_f32_e32 v40, 0x3e9e377a, v31
	v_add_f32_e32 v31, v19, v20
	v_fma_f32 v31, -0.5, v31, v2
	v_add_f32_e32 v37, v37, v35
	v_sub_f32_e32 v32, v10, v17
	v_mov_b32_e32 v35, v31
	v_add_f32_e32 v37, v37, v36
	v_fmac_f32_e32 v35, 0x3f737871, v32
	v_sub_f32_e32 v36, v11, v14
	v_sub_f32_e32 v39, v18, v19
	v_fmac_f32_e32 v31, 0xbf737871, v32
	v_fmac_f32_e32 v35, 0x3f167918, v36
	v_add_f32_e32 v39, v39, v49
	v_fmac_f32_e32 v31, 0xbf167918, v36
	v_fmac_f32_e32 v35, 0x3e9e377a, v39
	;; [unrolled: 1-line block ×3, first 2 shown]
	v_add_f32_e32 v39, v18, v21
	v_add_f32_e32 v24, v2, v18
	v_fmac_f32_e32 v2, -0.5, v39
	v_mov_b32_e32 v39, v2
	v_add_f32_e32 v24, v24, v19
	v_fmac_f32_e32 v39, 0xbf737871, v36
	v_fmac_f32_e32 v2, 0x3f737871, v36
	v_add_f32_e32 v36, v11, v14
	v_add_f32_e32 v24, v24, v20
	v_sub_f32_e32 v49, v19, v18
	v_fma_f32 v36, -0.5, v36, v3
	v_add_f32_e32 v24, v24, v21
	v_fmac_f32_e32 v39, 0x3f167918, v32
	v_add_f32_e32 v49, v49, v50
	v_fmac_f32_e32 v2, 0xbf167918, v32
	v_sub_f32_e32 v18, v18, v21
	v_mov_b32_e32 v21, v36
	v_fmac_f32_e32 v39, 0x3e9e377a, v49
	v_fmac_f32_e32 v2, 0x3e9e377a, v49
	;; [unrolled: 1-line block ×3, first 2 shown]
	v_sub_f32_e32 v19, v19, v20
	v_sub_f32_e32 v20, v10, v11
	;; [unrolled: 1-line block ×3, first 2 shown]
	v_fmac_f32_e32 v36, 0x3f737871, v18
	v_fmac_f32_e32 v21, 0xbf167918, v19
	v_add_f32_e32 v20, v20, v49
	v_fmac_f32_e32 v36, 0x3f167918, v19
	v_fmac_f32_e32 v21, 0x3e9e377a, v20
	;; [unrolled: 1-line block ×3, first 2 shown]
	v_add_f32_e32 v20, v10, v17
	v_add_f32_e32 v32, v3, v10
	v_fmac_f32_e32 v3, -0.5, v20
	v_add_f32_e32 v32, v32, v11
	v_mov_b32_e32 v49, v3
	v_sub_f32_e32 v10, v11, v10
	v_sub_f32_e32 v11, v14, v17
	v_fmac_f32_e32 v3, 0xbf737871, v19
	v_add_f32_e32 v10, v10, v11
	v_fmac_f32_e32 v3, 0x3f167918, v18
	v_add_f32_e32 v32, v32, v14
	v_fmac_f32_e32 v49, 0x3f737871, v19
	v_fmac_f32_e32 v3, 0x3e9e377a, v10
	v_mul_f32_e32 v14, 0xbe9e377a, v2
	v_fmac_f32_e32 v49, 0xbf167918, v18
	v_fmac_f32_e32 v14, 0x3f737871, v3
	v_mul_f32_e32 v3, 0xbe9e377a, v3
	;; [unrolled: 3-line block ×3, first 2 shown]
	v_mul_f32_e32 v11, 0x3f737871, v49
	v_add_f32_e32 v179, v40, v3
	v_sub_f32_e32 v167, v40, v3
	v_add_f32_e32 v3, v160, v163
	v_add_f32_e32 v32, v32, v17
	v_fmac_f32_e32 v10, 0x3f4f1bbd, v35
	v_fmac_f32_e32 v11, 0x3e9e377a, v39
	v_mul_f32_e32 v17, 0xbf4f1bbd, v31
	v_fma_f32 v3, -0.5, v3, v150
	v_add_f32_e32 v20, v38, v10
	v_add_f32_e32 v176, v44, v11
	v_fmac_f32_e32 v17, 0x3f167918, v36
	v_sub_f32_e32 v170, v38, v10
	v_sub_f32_e32 v172, v44, v11
	;; [unrolled: 1-line block ×3, first 2 shown]
	v_mov_b32_e32 v11, v3
	v_add_f32_e32 v180, v28, v24
	v_add_f32_e32 v178, v42, v14
	;; [unrolled: 1-line block ×3, first 2 shown]
	v_sub_f32_e32 v174, v28, v24
	v_sub_f32_e32 v166, v42, v14
	v_sub_f32_e32 v168, v29, v17
	v_fmac_f32_e32 v11, 0x3f737871, v10
	v_sub_f32_e32 v14, v16, v162
	v_sub_f32_e32 v17, v13, v160
	;; [unrolled: 1-line block ×3, first 2 shown]
	v_fmac_f32_e32 v3, 0xbf737871, v10
	v_fmac_f32_e32 v11, 0x3f167918, v14
	v_add_f32_e32 v17, v17, v24
	v_fmac_f32_e32 v3, 0xbf167918, v14
	v_fmac_f32_e32 v11, 0x3e9e377a, v17
	;; [unrolled: 1-line block ×3, first 2 shown]
	v_add_f32_e32 v17, v13, v165
	v_fma_f32 v24, -0.5, v17, v150
	v_mov_b32_e32 v28, v24
	v_fmac_f32_e32 v28, 0xbf737871, v14
	v_fmac_f32_e32 v24, 0x3f737871, v14
	;; [unrolled: 1-line block ×4, first 2 shown]
	v_add_f32_e32 v10, v151, v9
	v_add_f32_e32 v10, v10, v16
	v_sub_f32_e32 v17, v160, v13
	v_sub_f32_e32 v29, v163, v165
	v_add_f32_e32 v10, v10, v162
	v_mul_f32_e32 v2, 0xbf4f1bbd, v36
	v_add_f32_e32 v17, v17, v29
	v_add_f32_e32 v29, v10, v164
	;; [unrolled: 1-line block ×3, first 2 shown]
	v_fmac_f32_e32 v2, 0xbf167918, v31
	v_fma_f32 v31, -0.5, v10, v151
	v_add_f32_e32 v181, v37, v32
	v_sub_f32_e32 v175, v37, v32
	v_sub_f32_e32 v10, v13, v165
	v_mov_b32_e32 v32, v31
	v_add_f32_e32 v19, v41, v2
	v_sub_f32_e32 v169, v41, v2
	v_add_f32_e32 v2, v150, v13
	v_fmac_f32_e32 v28, 0x3e9e377a, v17
	v_fmac_f32_e32 v24, 0x3e9e377a, v17
	;; [unrolled: 1-line block ×3, first 2 shown]
	v_sub_f32_e32 v13, v160, v163
	v_sub_f32_e32 v14, v9, v16
	;; [unrolled: 1-line block ×3, first 2 shown]
	v_fmac_f32_e32 v31, 0x3f737871, v10
	v_fmac_f32_e32 v32, 0xbf167918, v13
	v_add_f32_e32 v14, v14, v17
	v_fmac_f32_e32 v31, 0x3f167918, v13
	v_mul_f32_e32 v35, 0xbf167918, v35
	v_fmac_f32_e32 v32, 0x3e9e377a, v14
	v_fmac_f32_e32 v31, 0x3e9e377a, v14
	v_add_f32_e32 v14, v9, v164
	v_fmac_f32_e32 v35, 0x3f4f1bbd, v21
	v_fmac_f32_e32 v151, -0.5, v14
	v_add_f32_e32 v21, v43, v35
	v_sub_f32_e32 v171, v43, v35
	v_mov_b32_e32 v35, v151
	v_fmac_f32_e32 v35, 0x3f737871, v13
	v_fmac_f32_e32 v151, 0xbf737871, v13
	;; [unrolled: 1-line block ×4, first 2 shown]
	v_add_f32_e32 v10, v7, v12
	v_fma_f32 v10, -0.5, v10, v0
	v_sub_f32_e32 v9, v16, v9
	v_sub_f32_e32 v14, v162, v164
	;; [unrolled: 1-line block ×3, first 2 shown]
	v_mov_b32_e32 v36, v10
	v_add_f32_e32 v9, v9, v14
	v_fmac_f32_e32 v36, 0x3f737871, v13
	v_sub_f32_e32 v14, v6, v8
	v_sub_f32_e32 v16, v5, v7
	v_sub_f32_e32 v17, v161, v12
	v_fmac_f32_e32 v10, 0xbf737871, v13
	v_fmac_f32_e32 v36, 0x3f167918, v14
	v_add_f32_e32 v16, v16, v17
	v_fmac_f32_e32 v10, 0xbf167918, v14
	v_fmac_f32_e32 v36, 0x3e9e377a, v16
	;; [unrolled: 1-line block ×3, first 2 shown]
	v_add_f32_e32 v16, v5, v161
	v_fmac_f32_e32 v35, 0x3e9e377a, v9
	v_fmac_f32_e32 v151, 0x3e9e377a, v9
	v_add_f32_e32 v9, v0, v5
	v_fmac_f32_e32 v0, -0.5, v16
	v_mov_b32_e32 v37, v0
	v_fmac_f32_e32 v37, 0xbf737871, v14
	v_fmac_f32_e32 v0, 0x3f737871, v14
	v_fmac_f32_e32 v37, 0x3f167918, v13
	v_fmac_f32_e32 v0, 0xbf167918, v13
	v_add_f32_e32 v13, v1, v4
	v_add_f32_e32 v13, v13, v6
	v_mul_f32_e32 v39, 0xbf737871, v39
	v_add_f32_e32 v13, v13, v8
	v_fmac_f32_e32 v39, 0x3e9e377a, v49
	v_add_f32_e32 v38, v13, v15
	v_add_f32_e32 v13, v6, v8
	;; [unrolled: 1-line block ×3, first 2 shown]
	v_sub_f32_e32 v173, v48, v39
	v_fma_f32 v39, -0.5, v13, v1
	v_add_f32_e32 v9, v9, v7
	v_sub_f32_e32 v16, v7, v5
	v_sub_f32_e32 v5, v5, v161
	v_mov_b32_e32 v13, v39
	v_add_f32_e32 v9, v9, v12
	v_sub_f32_e32 v17, v12, v161
	v_fmac_f32_e32 v13, 0xbf737871, v5
	v_sub_f32_e32 v7, v7, v12
	v_sub_f32_e32 v12, v4, v6
	;; [unrolled: 1-line block ×3, first 2 shown]
	v_fmac_f32_e32 v39, 0x3f737871, v5
	v_fmac_f32_e32 v13, 0xbf167918, v7
	v_add_f32_e32 v12, v12, v14
	v_fmac_f32_e32 v39, 0x3f167918, v7
	v_fmac_f32_e32 v13, 0x3e9e377a, v12
	;; [unrolled: 1-line block ×3, first 2 shown]
	v_add_f32_e32 v12, v4, v15
	v_fmac_f32_e32 v1, -0.5, v12
	v_add_f32_e32 v16, v16, v17
	v_mov_b32_e32 v40, v1
	v_sub_f32_e32 v4, v6, v4
	v_sub_f32_e32 v6, v8, v15
	v_fmac_f32_e32 v1, 0xbf737871, v7
	v_fmac_f32_e32 v0, 0x3e9e377a, v16
	v_add_f32_e32 v4, v4, v6
	v_fmac_f32_e32 v1, 0x3f167918, v5
	v_fmac_f32_e32 v40, 0x3f737871, v7
	;; [unrolled: 1-line block ×3, first 2 shown]
	v_mul_f32_e32 v6, 0xbe9e377a, v0
	v_fmac_f32_e32 v40, 0xbf167918, v5
	v_fmac_f32_e32 v6, 0x3f737871, v1
	v_mul_f32_e32 v1, 0xbe9e377a, v1
	v_fmac_f32_e32 v40, 0x3e9e377a, v4
	v_mul_f32_e32 v4, 0x3f167918, v13
	v_mul_f32_e32 v7, 0xbf4f1bbd, v10
	v_fmac_f32_e32 v1, 0xbf737871, v0
	v_mul_f32_e32 v0, 0xbf4f1bbd, v39
	v_fmac_f32_e32 v4, 0x3f4f1bbd, v36
	v_fmac_f32_e32 v7, 0x3f167918, v39
	;; [unrolled: 1-line block ×3, first 2 shown]
	v_add_f32_e32 v2, v2, v160
	v_add_f32_e32 v9, v9, v161
	;; [unrolled: 1-line block ×6, first 2 shown]
	v_sub_f32_e32 v162, v11, v4
	v_sub_f32_e32 v4, v24, v6
	;; [unrolled: 1-line block ×4, first 2 shown]
	v_add_f32_e32 v0, v144, v158
	v_add_f32_e32 v0, v0, v184
	v_fmac_f32_e32 v37, 0x3e9e377a, v16
	v_mul_f32_e32 v5, 0x3f737871, v40
	v_add_f32_e32 v0, v0, v186
	v_fmac_f32_e32 v5, 0x3e9e377a, v37
	v_add_f32_e32 v24, v0, v34
	v_add_f32_e32 v0, v184, v186
	;; [unrolled: 1-line block ×4, first 2 shown]
	v_sub_f32_e32 v8, v28, v5
	v_fma_f32 v28, -0.5, v0, v144
	v_add_f32_e32 v2, v2, v165
	v_add_f32_e32 v17, v29, v38
	v_sub_f32_e32 v11, v29, v38
	v_sub_f32_e32 v0, v152, v187
	v_mov_b32_e32 v29, v28
	v_add_f32_e32 v16, v2, v9
	v_add_f32_e32 v15, v151, v1
	v_sub_f32_e32 v10, v2, v9
	v_sub_f32_e32 v5, v151, v1
	v_fmac_f32_e32 v29, 0x3f737871, v0
	v_sub_f32_e32 v1, v182, v185
	v_sub_f32_e32 v2, v158, v184
	v_sub_f32_e32 v3, v34, v186
	v_fmac_f32_e32 v28, 0xbf737871, v0
	v_fmac_f32_e32 v29, 0x3f167918, v1
	v_add_f32_e32 v2, v2, v3
	v_fmac_f32_e32 v28, 0xbf167918, v1
	v_mul_f32_e32 v36, 0xbf167918, v36
	v_fmac_f32_e32 v29, 0x3e9e377a, v2
	v_fmac_f32_e32 v28, 0x3e9e377a, v2
	v_add_f32_e32 v2, v158, v34
	v_fmac_f32_e32 v36, 0x3f4f1bbd, v13
	v_fma_f32 v31, -0.5, v2, v144
	v_add_f32_e32 v165, v32, v36
	v_sub_f32_e32 v163, v32, v36
	v_mov_b32_e32 v32, v31
	v_fmac_f32_e32 v32, 0xbf737871, v1
	v_fmac_f32_e32 v31, 0x3f737871, v1
	;; [unrolled: 1-line block ×4, first 2 shown]
	v_add_f32_e32 v0, v145, v152
	v_mul_f32_e32 v37, 0xbf737871, v37
	v_add_f32_e32 v0, v0, v182
	v_fmac_f32_e32 v37, 0x3e9e377a, v40
	v_add_f32_e32 v0, v0, v185
	v_add_f32_e32 v13, v35, v37
	v_sub_f32_e32 v9, v35, v37
	v_add_f32_e32 v35, v0, v187
	v_add_f32_e32 v0, v182, v185
	v_sub_f32_e32 v2, v184, v158
	v_sub_f32_e32 v3, v186, v34
	v_fma_f32 v36, -0.5, v0, v145
	v_add_f32_e32 v2, v2, v3
	v_sub_f32_e32 v0, v158, v34
	v_mov_b32_e32 v34, v36
	v_fmac_f32_e32 v32, 0x3e9e377a, v2
	v_fmac_f32_e32 v31, 0x3e9e377a, v2
	;; [unrolled: 1-line block ×3, first 2 shown]
	v_sub_f32_e32 v1, v184, v186
	v_sub_f32_e32 v2, v152, v182
	;; [unrolled: 1-line block ×3, first 2 shown]
	v_fmac_f32_e32 v36, 0x3f737871, v0
	v_fmac_f32_e32 v34, 0xbf167918, v1
	v_add_f32_e32 v2, v2, v3
	v_fmac_f32_e32 v36, 0x3f167918, v1
	v_fmac_f32_e32 v34, 0x3e9e377a, v2
	;; [unrolled: 1-line block ×3, first 2 shown]
	v_add_f32_e32 v2, v152, v187
	v_fmac_f32_e32 v145, -0.5, v2
	v_mov_b32_e32 v37, v145
	v_fmac_f32_e32 v37, 0x3f737871, v1
	v_fmac_f32_e32 v145, 0xbf737871, v1
	;; [unrolled: 1-line block ×4, first 2 shown]
	v_add_f32_e32 v0, v33, v146
	v_add_f32_e32 v0, v0, v153
	v_add_f32_e32 v0, v0, v183
	v_add_f32_e32 v38, v0, v156
	v_add_f32_e32 v0, v153, v183
	v_sub_f32_e32 v2, v182, v152
	v_sub_f32_e32 v3, v185, v187
	v_fma_f32 v39, -0.5, v0, v33
	v_add_f32_e32 v2, v2, v3
	v_sub_f32_e32 v0, v46, v154
	v_mov_b32_e32 v3, v39
	v_fmac_f32_e32 v37, 0x3e9e377a, v2
	v_fmac_f32_e32 v145, 0x3e9e377a, v2
	;; [unrolled: 1-line block ×3, first 2 shown]
	v_sub_f32_e32 v1, v147, v159
	v_sub_f32_e32 v2, v146, v153
	;; [unrolled: 1-line block ×3, first 2 shown]
	v_fmac_f32_e32 v39, 0xbf737871, v0
	v_fmac_f32_e32 v3, 0x3f167918, v1
	v_add_f32_e32 v2, v2, v40
	v_fmac_f32_e32 v39, 0xbf167918, v1
	v_fmac_f32_e32 v3, 0x3e9e377a, v2
	;; [unrolled: 1-line block ×3, first 2 shown]
	v_add_f32_e32 v2, v146, v156
	v_fmac_f32_e32 v33, -0.5, v2
	v_mov_b32_e32 v40, v33
	v_fmac_f32_e32 v40, 0xbf737871, v1
	v_fmac_f32_e32 v33, 0x3f737871, v1
	;; [unrolled: 1-line block ×4, first 2 shown]
	v_add_f32_e32 v0, v45, v46
	v_add_f32_e32 v0, v0, v147
	v_sub_f32_e32 v2, v153, v146
	v_sub_f32_e32 v41, v183, v156
	v_add_f32_e32 v0, v0, v159
	v_add_f32_e32 v2, v2, v41
	;; [unrolled: 1-line block ×4, first 2 shown]
	v_fma_f32 v42, -0.5, v0, v45
	v_sub_f32_e32 v0, v146, v156
	v_mov_b32_e32 v43, v42
	v_fmac_f32_e32 v40, 0x3e9e377a, v2
	v_fmac_f32_e32 v33, 0x3e9e377a, v2
	;; [unrolled: 1-line block ×3, first 2 shown]
	v_sub_f32_e32 v1, v153, v183
	v_sub_f32_e32 v2, v46, v147
	;; [unrolled: 1-line block ×3, first 2 shown]
	v_fmac_f32_e32 v42, 0x3f737871, v0
	v_fmac_f32_e32 v43, 0xbf167918, v1
	v_add_f32_e32 v2, v2, v44
	v_fmac_f32_e32 v42, 0x3f167918, v1
	v_fmac_f32_e32 v43, 0x3e9e377a, v2
	;; [unrolled: 1-line block ×3, first 2 shown]
	v_add_f32_e32 v2, v46, v154
	v_fmac_f32_e32 v45, -0.5, v2
	v_mov_b32_e32 v44, v45
	v_fmac_f32_e32 v44, 0x3f737871, v1
	v_fmac_f32_e32 v45, 0xbf737871, v1
	;; [unrolled: 1-line block ×3, first 2 shown]
	v_sub_f32_e32 v2, v147, v46
	v_sub_f32_e32 v46, v159, v154
	v_fmac_f32_e32 v45, 0x3f167918, v0
	v_add_f32_e32 v0, v24, v38
	v_sub_f32_e32 v154, v24, v38
	v_mov_b32_e32 v24, 0x2ee
	v_cndmask_b32_e32 v24, 0, v24, vcc
	v_add_lshl_u32 v24, v27, v24, 3
	ds_write2_b64 v24, v[180:181], v[20:21] offset1:75
	v_add_u32_e32 v20, 0x800, v24
	ds_write2_b64 v20, v[18:19], v[174:175] offset0:44 offset1:119
	v_add_u32_e32 v18, 0xc00, v24
	buffer_store_dword v18, off, s[24:27], 0 offset:448 ; 4-byte Folded Spill
	ds_write2_b64 v18, v[170:171], v[172:173] offset0:66 offset1:141
	v_add_u32_e32 v18, 0x1000, v24
	buffer_store_dword v18, off, s[24:27], 0 offset:452 ; 4-byte Folded Spill
	ds_write2_b64 v18, v[166:167], v[168:169] offset0:88 offset1:163
	v_mul_u32_u24_e32 v18, 0x2ee, v25
	v_add_lshl_u32 v18, v18, v26, 3
	v_add_f32_e32 v2, v2, v46
	ds_write2_b64 v24, v[176:177], v[178:179] offset0:150 offset1:225
	ds_write2_b64 v18, v[12:13], v[14:15] offset0:150 offset1:225
	v_add_u32_e32 v12, 0x800, v18
	v_fmac_f32_e32 v44, 0x3e9e377a, v2
	v_fmac_f32_e32 v45, 0x3e9e377a, v2
	v_mul_f32_e32 v51, 0xbf167918, v3
	buffer_store_dword v12, off, s[24:27], 0 offset:460 ; 4-byte Folded Spill
	ds_write2_b64 v12, v[160:161], v[10:11] offset0:44 offset1:119
	v_add_u32_e32 v10, 0xc00, v18
	v_lshlrev_b32_e32 v12, 5, v52
	v_mul_f32_e32 v46, 0x3f167918, v43
	v_mul_f32_e32 v48, 0x3f737871, v44
	v_fmac_f32_e32 v51, 0x3f4f1bbd, v43
	v_mul_f32_e32 v43, 0xbe9e377a, v45
	ds_write2_b64 v10, v[162:163], v[8:9] offset0:66 offset1:141
	v_add_u32_e32 v8, 0x1000, v18
	v_add_co_u32_e32 v12, vcc, s10, v12
	v_fmac_f32_e32 v46, 0x3f4f1bbd, v3
	v_fmac_f32_e32 v48, 0x3e9e377a, v40
	v_mul_f32_e32 v49, 0xbe9e377a, v33
	v_mul_f32_e32 v50, 0xbf4f1bbd, v39
	;; [unrolled: 1-line block ×3, first 2 shown]
	v_fmac_f32_e32 v43, 0xbf737871, v33
	v_mul_f32_e32 v33, 0xbf4f1bbd, v42
	ds_write2_b64 v8, v[4:5], v[6:7] offset0:88 offset1:163
	v_mad_legacy_u16 v4, v22, s3, v23
	v_addc_co_u32_e32 v25, vcc, 0, v47, vcc
	s_movk_i32 s3, 0x1758
	v_add_f32_e32 v2, v29, v46
	v_fmac_f32_e32 v50, 0x3f167918, v42
	v_add_f32_e32 v1, v35, v41
	v_add_f32_e32 v3, v34, v51
	v_fmac_f32_e32 v40, 0x3e9e377a, v44
	v_fmac_f32_e32 v33, 0xbf167918, v39
	v_lshlrev_b32_e32 v4, 3, v4
	v_add_co_u32_e32 v44, vcc, s3, v12
	v_fmac_f32_e32 v49, 0x3f737871, v45
	v_add_f32_e32 v148, v28, v50
	v_add_f32_e32 v149, v36, v33
	v_sub_f32_e32 v155, v35, v41
	ds_write2_b64 v18, v[16:17], v[164:165] offset1:75
	ds_write2_b64 v4, v[0:1], v[2:3] offset1:75
	v_add_u32_e32 v0, 0x800, v4
	v_addc_co_u32_e32 v45, vcc, 0, v25, vcc
	v_add_f32_e32 v156, v32, v48
	v_sub_f32_e32 v150, v29, v46
	v_sub_f32_e32 v152, v32, v48
	;; [unrolled: 1-line block ×4, first 2 shown]
	buffer_store_dword v0, off, s[24:27], 0 offset:484 ; 4-byte Folded Spill
	ds_write2_b64 v0, v[148:149], v[154:155] offset0:44 offset1:119
	v_add_u32_e32 v0, 0xc00, v4
	v_add_co_u32_e32 v48, vcc, s2, v12
	v_add_f32_e32 v158, v31, v49
	v_add_f32_e32 v157, v37, v40
	;; [unrolled: 1-line block ×3, first 2 shown]
	v_sub_f32_e32 v144, v31, v49
	v_sub_f32_e32 v146, v28, v50
	;; [unrolled: 1-line block ×4, first 2 shown]
	buffer_store_dword v0, off, s[24:27], 0 offset:488 ; 4-byte Folded Spill
	ds_write2_b64 v0, v[150:151], v[152:153] offset0:66 offset1:141
	v_add_u32_e32 v0, 0x1000, v4
	v_addc_co_u32_e32 v49, vcc, 0, v25, vcc
	buffer_store_dword v24, off, s[24:27], 0 offset:456 ; 4-byte Folded Spill
	buffer_store_dword v20, off, s[24:27], 0 offset:444 ; 4-byte Folded Spill
	;; [unrolled: 1-line block ×6, first 2 shown]
	ds_write2_b64 v4, v[156:157], v[158:159] offset0:150 offset1:225
	buffer_store_dword v0, off, s[24:27], 0 offset:492 ; 4-byte Folded Spill
	ds_write2_b64 v0, v[144:145], v[146:147] offset0:88 offset1:163
	s_waitcnt vmcnt(0) lgkmcnt(0)
	s_barrier
	ds_read2_b64 v[200:203], v74 offset1:125
	ds_read2_b64 v[8:11], v59 offset0:110 offset1:235
	ds_read2_b64 v[13:16], v66 offset0:92 offset1:217
	;; [unrolled: 1-line block ×14, first 2 shown]
	global_load_dwordx4 v[148:151], v[48:49], off offset:1880
	global_load_dwordx4 v[144:147], v[44:45], off offset:16
	s_waitcnt vmcnt(1) lgkmcnt(13)
	v_mul_f32_e32 v12, v9, v149
	v_fma_f32 v53, v8, v148, -v12
	v_mul_f32_e32 v45, v8, v149
	s_waitcnt lgkmcnt(12)
	v_mul_f32_e32 v8, v14, v151
	v_lshlrev_b32_e32 v12, 5, v205
	v_fma_f32 v255, v13, v150, -v8
	v_mul_f32_e32 v46, v13, v151
	s_waitcnt vmcnt(0) lgkmcnt(11)
	v_mul_f32_e32 v8, v18, v145
	v_add_co_u32_e32 v12, vcc, s10, v12
	v_fmac_f32_e32 v46, v14, v150
	v_fma_f32 v13, v17, v144, -v8
	s_waitcnt lgkmcnt(10)
	v_mul_f32_e32 v8, v32, v147
	v_addc_co_u32_e32 v14, vcc, 0, v47, vcc
	v_fmac_f32_e32 v45, v9, v148
	v_fma_f32 v9, v31, v146, -v8
	v_mul_f32_e32 v8, v31, v147
	v_add_co_u32_e32 v31, vcc, s3, v12
	v_fmac_f32_e32 v8, v32, v146
	v_addc_co_u32_e32 v32, vcc, 0, v14, vcc
	v_add_co_u32_e32 v48, vcc, s2, v12
	v_addc_co_u32_e32 v49, vcc, 0, v14, vcc
	global_load_dwordx4 v[156:159], v[48:49], off offset:1880
	global_load_dwordx4 v[152:155], v[31:32], off offset:16
	v_mul_f32_e32 v17, v17, v145
	v_fmac_f32_e32 v17, v18, v144
	s_waitcnt vmcnt(1)
	v_mul_f32_e32 v12, v11, v157
	v_fma_f32 v31, v10, v156, -v12
	s_waitcnt vmcnt(0)
	v_mul_f32_e32 v12, v20, v153
	v_mul_f32_e32 v10, v10, v157
	v_fma_f32 v72, v19, v152, -v12
	v_mul_f32_e32 v12, v34, v155
	v_fmac_f32_e32 v10, v11, v156
	v_mul_f32_e32 v11, v16, v159
	v_fma_f32 v75, v33, v154, -v12
	v_lshlrev_b32_e32 v12, 5, v206
	v_fma_f32 v14, v15, v158, -v11
	v_mul_f32_e32 v11, v15, v159
	v_add_co_u32_e32 v12, vcc, s10, v12
	v_fmac_f32_e32 v11, v16, v158
	v_addc_co_u32_e32 v16, vcc, 0, v47, vcc
	v_add_co_u32_e32 v18, vcc, s3, v12
	v_mul_f32_e32 v15, v19, v153
	v_addc_co_u32_e32 v19, vcc, 0, v16, vcc
	v_add_co_u32_e32 v32, vcc, s2, v12
	v_mul_f32_e32 v73, v33, v155
	v_addc_co_u32_e32 v33, vcc, 0, v16, vcc
	global_load_dwordx4 v[168:171], v[32:33], off offset:1880
	global_load_dwordx4 v[160:163], v[18:19], off offset:16
	v_fmac_f32_e32 v73, v34, v154
	v_fmac_f32_e32 v15, v20, v152
	s_waitcnt vmcnt(1) lgkmcnt(8)
	v_mul_f32_e32 v12, v37, v169
	v_fma_f32 v207, v36, v168, -v12
	s_waitcnt lgkmcnt(7)
	v_mul_f32_e32 v12, v41, v171
	v_fma_f32 v208, v40, v170, -v12
	s_waitcnt vmcnt(0) lgkmcnt(6)
	v_mul_f32_e32 v12, v173, v161
	v_fma_f32 v209, v172, v160, -v12
	s_waitcnt lgkmcnt(5)
	v_mul_f32_e32 v12, v179, v163
	v_fma_f32 v54, v178, v162, -v12
	v_lshlrev_b32_e32 v12, 5, v30
	v_add_co_u32_e32 v12, vcc, s10, v12
	v_addc_co_u32_e32 v16, vcc, 0, v47, vcc
	v_add_co_u32_e32 v18, vcc, s3, v12
	v_addc_co_u32_e32 v19, vcc, 0, v16, vcc
	v_add_co_u32_e32 v34, vcc, s2, v12
	v_mul_f32_e32 v206, v178, v163
	v_addc_co_u32_e32 v35, vcc, 0, v16, vcc
	v_fmac_f32_e32 v206, v179, v162
	global_load_dwordx4 v[176:179], v[34:35], off offset:1880
	global_load_dwordx4 v[164:167], v[18:19], off offset:16
	v_mul_f32_e32 v25, v36, v169
	v_mul_f32_e32 v33, v40, v171
	v_fmac_f32_e32 v33, v41, v170
	v_fmac_f32_e32 v25, v37, v168
	v_mul_f32_e32 v37, v172, v161
	v_fmac_f32_e32 v37, v173, v160
	s_waitcnt vmcnt(1)
	v_mul_f32_e32 v12, v39, v177
	v_fma_f32 v34, v38, v176, -v12
	v_mul_f32_e32 v12, v43, v179
	v_fma_f32 v36, v42, v178, -v12
	s_waitcnt vmcnt(0)
	v_mul_f32_e32 v12, v175, v165
	v_fma_f32 v35, v174, v164, -v12
	v_mul_f32_e32 v12, v181, v167
	v_fma_f32 v32, v180, v166, -v12
	v_lshlrev_b32_e32 v12, 5, v189
	v_add_co_u32_e32 v12, vcc, s10, v12
	v_addc_co_u32_e32 v16, vcc, 0, v47, vcc
	v_add_co_u32_e32 v18, vcc, s3, v12
	v_addc_co_u32_e32 v19, vcc, 0, v16, vcc
	v_mul_f32_e32 v38, v38, v177
	v_add_co_u32_e32 v41, vcc, s2, v12
	v_fmac_f32_e32 v38, v39, v176
	v_mul_f32_e32 v39, v42, v179
	v_mul_f32_e32 v40, v174, v165
	v_addc_co_u32_e32 v42, vcc, 0, v16, vcc
	v_fmac_f32_e32 v40, v175, v164
	global_load_dwordx4 v[184:187], v[41:42], off offset:1880
	global_load_dwordx4 v[172:175], v[18:19], off offset:16
	v_mul_f32_e32 v210, v180, v167
	v_fmac_f32_e32 v210, v181, v166
	v_fmac_f32_e32 v39, v43, v178
	s_waitcnt vmcnt(1) lgkmcnt(3)
	v_mul_f32_e32 v12, v1, v185
	v_fma_f32 v211, v0, v184, -v12
	v_mul_f32_e32 v55, v0, v185
	s_waitcnt lgkmcnt(2)
	v_mul_f32_e32 v0, v5, v187
	v_fma_f32 v229, v4, v186, -v0
	s_waitcnt vmcnt(0) lgkmcnt(1)
	v_mul_f32_e32 v0, v22, v173
	v_fma_f32 v42, v21, v172, -v0
	s_waitcnt lgkmcnt(0)
	v_mul_f32_e32 v0, v27, v175
	v_fma_f32 v41, v26, v174, -v0
	v_lshlrev_b32_e32 v0, 5, v188
	v_mul_f32_e32 v16, v4, v187
	v_add_co_u32_e32 v4, vcc, s10, v0
	v_fmac_f32_e32 v16, v5, v186
	v_addc_co_u32_e32 v5, vcc, 0, v47, vcc
	v_add_co_u32_e32 v0, vcc, s3, v4
	v_fmac_f32_e32 v55, v1, v184
	v_addc_co_u32_e32 v1, vcc, 0, v5, vcc
	v_add_co_u32_e32 v4, vcc, s2, v4
	v_addc_co_u32_e32 v5, vcc, 0, v5, vcc
	global_load_dwordx4 v[188:191], v[4:5], off offset:1880
	global_load_dwordx4 v[180:183], v[0:1], off offset:16
	v_mul_f32_e32 v30, v21, v173
	v_sub_f32_e32 v1, v46, v17
	v_mul_f32_e32 v228, v26, v175
	v_fmac_f32_e32 v30, v22, v172
	v_fmac_f32_e32 v228, v27, v174
	s_movk_i32 s2, 0x7530
	s_waitcnt vmcnt(1)
	v_mul_f32_e32 v0, v3, v189
	v_fma_f32 v49, v2, v188, -v0
	v_mul_f32_e32 v0, v7, v191
	v_fma_f32 v48, v6, v190, -v0
	s_waitcnt vmcnt(0)
	v_mul_f32_e32 v0, v24, v181
	v_fma_f32 v47, v23, v180, -v0
	v_mul_f32_e32 v0, v29, v183
	v_fma_f32 v44, v28, v182, -v0
	v_add_f32_e32 v0, v200, v53
	v_add_f32_e32 v0, v0, v255
	;; [unrolled: 1-line block ×5, first 2 shown]
	v_fma_f32 v18, -0.5, v0, v200
	v_mul_f32_e32 v43, v2, v189
	v_sub_f32_e32 v0, v45, v8
	v_mov_b32_e32 v21, v18
	v_fmac_f32_e32 v43, v3, v188
	v_fmac_f32_e32 v21, 0x3f737871, v0
	v_sub_f32_e32 v2, v53, v255
	v_sub_f32_e32 v3, v9, v13
	v_fmac_f32_e32 v18, 0xbf737871, v0
	v_fmac_f32_e32 v21, 0x3f167918, v1
	v_add_f32_e32 v2, v2, v3
	v_fmac_f32_e32 v18, 0xbf167918, v1
	v_fmac_f32_e32 v21, 0x3e9e377a, v2
	;; [unrolled: 1-line block ×3, first 2 shown]
	v_add_f32_e32 v2, v53, v9
	v_mul_f32_e32 v26, v6, v191
	v_fma_f32 v6, -0.5, v2, v200
	v_mov_b32_e32 v12, v6
	v_fmac_f32_e32 v12, 0xbf737871, v1
	v_fmac_f32_e32 v6, 0x3f737871, v1
	;; [unrolled: 1-line block ×4, first 2 shown]
	v_add_f32_e32 v0, v201, v45
	v_add_f32_e32 v0, v0, v46
	;; [unrolled: 1-line block ×5, first 2 shown]
	v_sub_f32_e32 v2, v255, v53
	v_sub_f32_e32 v3, v13, v9
	v_fma_f32 v19, -0.5, v0, v201
	v_add_f32_e32 v2, v2, v3
	v_sub_f32_e32 v0, v53, v9
	v_mov_b32_e32 v22, v19
	v_fmac_f32_e32 v12, 0x3e9e377a, v2
	v_fmac_f32_e32 v6, 0x3e9e377a, v2
	;; [unrolled: 1-line block ×3, first 2 shown]
	v_sub_f32_e32 v1, v255, v13
	v_sub_f32_e32 v2, v45, v46
	v_sub_f32_e32 v3, v8, v17
	v_fmac_f32_e32 v19, 0x3f737871, v0
	v_fmac_f32_e32 v22, 0xbf167918, v1
	v_add_f32_e32 v2, v2, v3
	v_fmac_f32_e32 v19, 0x3f167918, v1
	v_fmac_f32_e32 v22, 0x3e9e377a, v2
	;; [unrolled: 1-line block ×3, first 2 shown]
	v_add_f32_e32 v2, v45, v8
	v_fmac_f32_e32 v26, v7, v190
	v_fma_f32 v7, -0.5, v2, v201
	v_mov_b32_e32 v13, v7
	v_fmac_f32_e32 v13, 0x3f737871, v1
	v_fmac_f32_e32 v7, 0xbf737871, v1
	;; [unrolled: 1-line block ×4, first 2 shown]
	v_add_f32_e32 v0, v202, v31
	v_add_f32_e32 v0, v0, v14
	;; [unrolled: 1-line block ×3, first 2 shown]
	v_sub_f32_e32 v2, v46, v45
	v_add_f32_e32 v45, v0, v75
	v_add_f32_e32 v0, v14, v72
	v_sub_f32_e32 v3, v17, v8
	v_fma_f32 v27, -0.5, v0, v202
	v_add_f32_e32 v2, v2, v3
	v_sub_f32_e32 v0, v10, v73
	v_mov_b32_e32 v8, v27
	v_fmac_f32_e32 v13, 0x3e9e377a, v2
	v_fmac_f32_e32 v7, 0x3e9e377a, v2
	;; [unrolled: 1-line block ×3, first 2 shown]
	v_sub_f32_e32 v1, v11, v15
	v_sub_f32_e32 v2, v31, v14
	;; [unrolled: 1-line block ×3, first 2 shown]
	v_fmac_f32_e32 v27, 0xbf737871, v0
	v_fmac_f32_e32 v8, 0x3f167918, v1
	v_add_f32_e32 v2, v2, v3
	v_fmac_f32_e32 v27, 0xbf167918, v1
	v_fmac_f32_e32 v8, 0x3e9e377a, v2
	;; [unrolled: 1-line block ×3, first 2 shown]
	v_add_f32_e32 v2, v31, v75
	v_fma_f32 v202, -0.5, v2, v202
	v_mov_b32_e32 v4, v202
	v_fmac_f32_e32 v4, 0xbf737871, v1
	v_fmac_f32_e32 v202, 0x3f737871, v1
	;; [unrolled: 1-line block ×4, first 2 shown]
	v_add_f32_e32 v0, v203, v10
	v_add_f32_e32 v0, v0, v11
	;; [unrolled: 1-line block ×5, first 2 shown]
	v_mul_f32_e32 v20, v28, v183
	v_sub_f32_e32 v2, v14, v31
	v_sub_f32_e32 v3, v72, v75
	v_fma_f32 v28, -0.5, v0, v203
	v_add_f32_e32 v2, v2, v3
	v_sub_f32_e32 v0, v31, v75
	v_mov_b32_e32 v9, v28
	v_fmac_f32_e32 v4, 0x3e9e377a, v2
	v_fmac_f32_e32 v202, 0x3e9e377a, v2
	v_fmac_f32_e32 v9, 0xbf737871, v0
	v_sub_f32_e32 v1, v14, v72
	v_sub_f32_e32 v2, v10, v11
	;; [unrolled: 1-line block ×3, first 2 shown]
	v_fmac_f32_e32 v28, 0x3f737871, v0
	v_fmac_f32_e32 v9, 0xbf167918, v1
	v_add_f32_e32 v2, v2, v3
	v_fmac_f32_e32 v28, 0x3f167918, v1
	v_fmac_f32_e32 v9, 0x3e9e377a, v2
	;; [unrolled: 1-line block ×3, first 2 shown]
	v_add_f32_e32 v2, v10, v73
	v_fmac_f32_e32 v203, -0.5, v2
	v_mov_b32_e32 v5, v203
	v_fmac_f32_e32 v5, 0x3f737871, v1
	v_fmac_f32_e32 v203, 0xbf737871, v1
	;; [unrolled: 1-line block ×4, first 2 shown]
	v_add_f32_e32 v0, v196, v207
	v_add_f32_e32 v0, v0, v208
	;; [unrolled: 1-line block ×5, first 2 shown]
	v_sub_f32_e32 v2, v11, v10
	v_sub_f32_e32 v3, v15, v73
	v_fma_f32 v14, -0.5, v0, v196
	v_add_f32_e32 v2, v2, v3
	v_sub_f32_e32 v1, v25, v206
	v_mov_b32_e32 v10, v14
	v_fmac_f32_e32 v5, 0x3e9e377a, v2
	v_fmac_f32_e32 v203, 0x3e9e377a, v2
	;; [unrolled: 1-line block ×3, first 2 shown]
	v_sub_f32_e32 v3, v33, v37
	v_sub_f32_e32 v0, v207, v208
	;; [unrolled: 1-line block ×3, first 2 shown]
	v_fmac_f32_e32 v14, 0xbf737871, v1
	v_fmac_f32_e32 v10, 0x3f167918, v3
	v_add_f32_e32 v0, v0, v2
	v_fmac_f32_e32 v14, 0xbf167918, v3
	v_fmac_f32_e32 v10, 0x3e9e377a, v0
	;; [unrolled: 1-line block ×3, first 2 shown]
	v_add_f32_e32 v0, v207, v54
	v_fma_f32 v2, -0.5, v0, v196
	v_mov_b32_e32 v0, v2
	v_fmac_f32_e32 v0, 0xbf737871, v3
	v_fmac_f32_e32 v2, 0x3f737871, v3
	;; [unrolled: 1-line block ×4, first 2 shown]
	v_add_f32_e32 v1, v197, v25
	v_add_f32_e32 v1, v1, v33
	;; [unrolled: 1-line block ×3, first 2 shown]
	v_sub_f32_e32 v11, v208, v207
	v_sub_f32_e32 v15, v209, v54
	v_add_f32_e32 v53, v1, v206
	v_add_f32_e32 v1, v33, v37
	;; [unrolled: 1-line block ×3, first 2 shown]
	v_fma_f32 v15, -0.5, v1, v197
	v_fmac_f32_e32 v0, 0x3e9e377a, v11
	v_fmac_f32_e32 v2, 0x3e9e377a, v11
	v_sub_f32_e32 v17, v207, v54
	v_mov_b32_e32 v11, v15
	v_mul_f32_e32 v205, v23, v181
	v_fmac_f32_e32 v11, 0xbf737871, v17
	v_sub_f32_e32 v23, v208, v209
	v_sub_f32_e32 v1, v25, v33
	;; [unrolled: 1-line block ×3, first 2 shown]
	v_fmac_f32_e32 v15, 0x3f737871, v17
	v_fmac_f32_e32 v11, 0xbf167918, v23
	v_add_f32_e32 v1, v1, v3
	v_fmac_f32_e32 v15, 0x3f167918, v23
	v_fmac_f32_e32 v11, 0x3e9e377a, v1
	;; [unrolled: 1-line block ×3, first 2 shown]
	v_add_f32_e32 v1, v25, v206
	v_fma_f32 v3, -0.5, v1, v197
	v_mov_b32_e32 v1, v3
	v_fmac_f32_e32 v1, 0x3f737871, v23
	v_fmac_f32_e32 v3, 0xbf737871, v23
	;; [unrolled: 1-line block ×4, first 2 shown]
	v_add_f32_e32 v17, v198, v34
	v_add_f32_e32 v17, v17, v36
	;; [unrolled: 1-line block ×5, first 2 shown]
	v_fmac_f32_e32 v205, v24, v180
	v_sub_f32_e32 v24, v33, v25
	v_sub_f32_e32 v25, v37, v206
	v_fma_f32 v206, -0.5, v17, v198
	v_add_f32_e32 v24, v24, v25
	v_sub_f32_e32 v17, v38, v210
	v_mov_b32_e32 v33, v206
	v_fmac_f32_e32 v1, 0x3e9e377a, v24
	v_fmac_f32_e32 v3, 0x3e9e377a, v24
	;; [unrolled: 1-line block ×3, first 2 shown]
	v_sub_f32_e32 v24, v39, v40
	v_sub_f32_e32 v23, v34, v36
	;; [unrolled: 1-line block ×3, first 2 shown]
	v_fmac_f32_e32 v206, 0xbf737871, v17
	v_fmac_f32_e32 v33, 0x3f167918, v24
	v_add_f32_e32 v23, v23, v25
	v_fmac_f32_e32 v206, 0xbf167918, v24
	v_fmac_f32_e32 v33, 0x3e9e377a, v23
	;; [unrolled: 1-line block ×3, first 2 shown]
	v_add_f32_e32 v23, v34, v32
	v_fma_f32 v198, -0.5, v23, v198
	v_mov_b32_e32 v23, v198
	v_fmac_f32_e32 v23, 0xbf737871, v24
	v_fmac_f32_e32 v198, 0x3f737871, v24
	;; [unrolled: 1-line block ×4, first 2 shown]
	v_add_f32_e32 v17, v199, v38
	v_add_f32_e32 v17, v17, v39
	;; [unrolled: 1-line block ×5, first 2 shown]
	v_fmac_f32_e32 v20, v29, v182
	v_sub_f32_e32 v25, v36, v34
	v_sub_f32_e32 v29, v35, v32
	v_fma_f32 v207, -0.5, v17, v199
	v_add_f32_e32 v25, v25, v29
	v_sub_f32_e32 v17, v34, v32
	v_mov_b32_e32 v34, v207
	v_fmac_f32_e32 v23, 0x3e9e377a, v25
	v_fmac_f32_e32 v198, 0x3e9e377a, v25
	;; [unrolled: 1-line block ×3, first 2 shown]
	v_sub_f32_e32 v25, v36, v35
	v_sub_f32_e32 v24, v38, v39
	;; [unrolled: 1-line block ×3, first 2 shown]
	v_fmac_f32_e32 v207, 0x3f737871, v17
	v_fmac_f32_e32 v34, 0xbf167918, v25
	v_add_f32_e32 v24, v24, v29
	v_fmac_f32_e32 v207, 0x3f167918, v25
	v_fmac_f32_e32 v34, 0x3e9e377a, v24
	;; [unrolled: 1-line block ×3, first 2 shown]
	v_add_f32_e32 v24, v38, v210
	v_fmac_f32_e32 v199, -0.5, v24
	v_mov_b32_e32 v24, v199
	v_fmac_f32_e32 v24, 0x3f737871, v25
	v_fmac_f32_e32 v199, 0xbf737871, v25
	;; [unrolled: 1-line block ×4, first 2 shown]
	v_add_f32_e32 v17, v192, v211
	v_add_f32_e32 v17, v17, v229
	;; [unrolled: 1-line block ×3, first 2 shown]
	v_sub_f32_e32 v29, v39, v38
	v_add_f32_e32 v38, v17, v41
	v_add_f32_e32 v17, v229, v42
	v_sub_f32_e32 v31, v40, v210
	v_fma_f32 v196, -0.5, v17, v192
	v_add_f32_e32 v29, v29, v31
	v_sub_f32_e32 v17, v55, v228
	v_mov_b32_e32 v210, v196
	v_fmac_f32_e32 v24, 0x3e9e377a, v29
	v_fmac_f32_e32 v199, 0x3e9e377a, v29
	;; [unrolled: 1-line block ×3, first 2 shown]
	v_sub_f32_e32 v25, v16, v30
	v_sub_f32_e32 v29, v211, v229
	;; [unrolled: 1-line block ×3, first 2 shown]
	v_fmac_f32_e32 v196, 0xbf737871, v17
	v_fmac_f32_e32 v210, 0x3f167918, v25
	v_add_f32_e32 v29, v29, v31
	v_fmac_f32_e32 v196, 0xbf167918, v25
	v_fmac_f32_e32 v210, 0x3e9e377a, v29
	;; [unrolled: 1-line block ×3, first 2 shown]
	v_add_f32_e32 v29, v211, v41
	v_fma_f32 v200, -0.5, v29, v192
	v_mov_b32_e32 v31, v200
	v_fmac_f32_e32 v31, 0xbf737871, v25
	v_fmac_f32_e32 v200, 0x3f737871, v25
	;; [unrolled: 1-line block ×4, first 2 shown]
	v_add_f32_e32 v17, v193, v55
	v_add_f32_e32 v17, v17, v16
	;; [unrolled: 1-line block ×5, first 2 shown]
	v_sub_f32_e32 v29, v229, v211
	v_sub_f32_e32 v32, v42, v41
	v_fma_f32 v197, -0.5, v17, v193
	v_add_f32_e32 v29, v29, v32
	v_sub_f32_e32 v17, v211, v41
	v_mov_b32_e32 v211, v197
	v_fmac_f32_e32 v31, 0x3e9e377a, v29
	v_fmac_f32_e32 v200, 0x3e9e377a, v29
	v_fmac_f32_e32 v211, 0xbf737871, v17
	v_sub_f32_e32 v25, v229, v42
	v_sub_f32_e32 v29, v55, v16
	;; [unrolled: 1-line block ×3, first 2 shown]
	v_fmac_f32_e32 v197, 0x3f737871, v17
	v_fmac_f32_e32 v211, 0xbf167918, v25
	v_add_f32_e32 v29, v29, v32
	v_fmac_f32_e32 v197, 0x3f167918, v25
	v_fmac_f32_e32 v211, 0x3e9e377a, v29
	;; [unrolled: 1-line block ×3, first 2 shown]
	v_add_f32_e32 v29, v55, v228
	v_fma_f32 v201, -0.5, v29, v193
	v_mov_b32_e32 v32, v201
	v_fmac_f32_e32 v32, 0x3f737871, v25
	v_sub_f32_e32 v16, v16, v55
	v_sub_f32_e32 v29, v30, v228
	v_fmac_f32_e32 v201, 0xbf737871, v25
	v_fmac_f32_e32 v32, 0xbf167918, v17
	v_add_f32_e32 v16, v16, v29
	v_fmac_f32_e32 v201, 0x3f167918, v17
	v_fmac_f32_e32 v32, 0x3e9e377a, v16
	;; [unrolled: 1-line block ×3, first 2 shown]
	v_add_f32_e32 v16, v194, v49
	v_add_f32_e32 v16, v16, v48
	;; [unrolled: 1-line block ×5, first 2 shown]
	v_fma_f32 v29, -0.5, v16, v194
	v_sub_f32_e32 v17, v43, v20
	v_mov_b32_e32 v192, v29
	v_fmac_f32_e32 v192, 0x3f737871, v17
	v_sub_f32_e32 v25, v26, v205
	v_sub_f32_e32 v16, v49, v48
	;; [unrolled: 1-line block ×3, first 2 shown]
	v_fmac_f32_e32 v29, 0xbf737871, v17
	v_fmac_f32_e32 v192, 0x3f167918, v25
	v_add_f32_e32 v16, v16, v30
	v_fmac_f32_e32 v29, 0xbf167918, v25
	v_fmac_f32_e32 v192, 0x3e9e377a, v16
	;; [unrolled: 1-line block ×3, first 2 shown]
	v_add_f32_e32 v16, v49, v44
	v_fma_f32 v194, -0.5, v16, v194
	v_mov_b32_e32 v16, v194
	v_fmac_f32_e32 v16, 0xbf737871, v25
	v_fmac_f32_e32 v194, 0x3f737871, v25
	;; [unrolled: 1-line block ×4, first 2 shown]
	v_add_f32_e32 v17, v195, v43
	v_add_f32_e32 v17, v17, v26
	v_sub_f32_e32 v30, v48, v49
	v_sub_f32_e32 v35, v47, v44
	v_add_f32_e32 v17, v17, v205
	v_add_f32_e32 v30, v30, v35
	v_add_f32_e32 v229, v17, v20
	v_add_f32_e32 v17, v26, v205
	v_fmac_f32_e32 v16, 0x3e9e377a, v30
	v_fmac_f32_e32 v194, 0x3e9e377a, v30
	v_fma_f32 v30, -0.5, v17, v195
	v_sub_f32_e32 v25, v49, v44
	v_mov_b32_e32 v193, v30
	v_fmac_f32_e32 v193, 0xbf737871, v25
	v_sub_f32_e32 v35, v48, v47
	v_sub_f32_e32 v17, v43, v26
	;; [unrolled: 1-line block ×3, first 2 shown]
	v_fmac_f32_e32 v30, 0x3f737871, v25
	v_fmac_f32_e32 v193, 0xbf167918, v35
	v_add_f32_e32 v17, v17, v36
	v_fmac_f32_e32 v30, 0x3f167918, v35
	v_fmac_f32_e32 v193, 0x3e9e377a, v17
	;; [unrolled: 1-line block ×3, first 2 shown]
	v_add_f32_e32 v17, v43, v20
	v_fmac_f32_e32 v195, -0.5, v17
	v_mov_b32_e32 v17, v195
	v_sub_f32_e32 v26, v26, v43
	v_sub_f32_e32 v20, v205, v20
	v_fmac_f32_e32 v17, 0x3f737871, v35
	v_add_f32_e32 v20, v26, v20
	v_fmac_f32_e32 v195, 0xbf737871, v35
	v_add_u32_e32 v26, 0x3000, v74
	v_fmac_f32_e32 v17, 0xbf167918, v25
	v_fmac_f32_e32 v195, 0x3f167918, v25
	ds_write_b64 v74, v[21:22] offset:6000
	ds_write_b64 v74, v[12:13] offset:12000
	;; [unrolled: 1-line block ×4, first 2 shown]
	ds_write2_b64 v74, v[50:51], v[45:46] offset1:125
	v_add_u32_e32 v6, 0x1800, v74
	ds_write2_b64 v26, v[4:5], v[0:1] offset0:89 offset1:214
	v_add_u32_e32 v0, 0x4800, v74
	v_add_u32_e32 v35, 0x6000, v74
	v_fmac_f32_e32 v17, 0x3e9e377a, v20
	v_fmac_f32_e32 v195, 0x3e9e377a, v20
	ds_write2_b64 v6, v[8:9], v[10:11] offset0:107 offset1:232
	ds_write2_b64 v0, v[202:203], v[2:3] offset0:71 offset1:196
	v_mov_b32_e32 v37, v0
	ds_write2_b64 v35, v[27:28], v[14:15] offset0:53 offset1:178
	ds_write2_b64 v57, v[52:53], v[208:209] offset0:122 offset1:247
	ds_write_b64 v74, v[23:24] offset:15000
	ds_write_b64 v74, v[198:199] offset:21000
	;; [unrolled: 1-line block ×3, first 2 shown]
	v_add_u32_e32 v0, 0x2000, v74
	v_add_u32_e32 v28, 0x3c00, v74
	;; [unrolled: 1-line block ×4, first 2 shown]
	v_mov_b32_e32 v36, v6
	ds_write2_b64 v0, v[33:34], v[210:211] offset0:101 offset1:226
	v_mov_b32_e32 v34, v0
	ds_write2_b64 v56, v[38:39], v[228:229] offset0:116 offset1:241
	ds_write_b64 v74, v[192:193] offset:11000
	ds_write2_b64 v28, v[31:32], v[16:17] offset0:80 offset1:205
	ds_write2_b64 v27, v[200:201], v[194:195] offset0:62 offset1:187
	;; [unrolled: 1-line block ×3, first 2 shown]
	s_waitcnt lgkmcnt(0)
	s_barrier
	ds_read2_b64 v[4:7], v74 offset1:125
	buffer_load_dword v0, off, s[24:27], 0 offset:476 ; 4-byte Folded Reload
	buffer_load_dword v1, off, s[24:27], 0 offset:480 ; 4-byte Folded Reload
	v_add_co_u32_e32 v18, vcc, s2, v254
	v_addc_co_u32_e32 v19, vcc, 0, v204, vcc
	s_mov_b32 s2, 0x9000
	v_add_u32_e32 v72, 0x2400, v74
	v_add_u32_e32 v228, 0x1c00, v74
	v_mov_b32_e32 v255, v27
	v_mov_b32_e32 v75, v58
	;; [unrolled: 1-line block ×3, first 2 shown]
	s_waitcnt vmcnt(0)
	global_load_dwordx2 v[0:1], v[0:1], off offset:1328
	s_waitcnt vmcnt(0) lgkmcnt(0)
	v_mul_f32_e32 v2, v5, v1
	v_fma_f32 v2, v4, v0, -v2
	v_mul_f32_e32 v3, v4, v1
	v_add_co_u32_e32 v4, vcc, s2, v254
	v_fmac_f32_e32 v3, v5, v0
	v_addc_co_u32_e32 v5, vcc, 0, v204, vcc
	global_load_dwordx2 v[0:1], v[4:5], off offset:3136
	ds_write_b64 v74, v[2:3]
	ds_read2_b64 v[8:11], v72 offset0:98 offset1:223
	s_mov_b32 s2, 0xc000
	v_add_co_u32_e32 v20, vcc, s2, v254
	v_addc_co_u32_e32 v21, vcc, 0, v204, vcc
	ds_read2_b64 v[12:15], v71 offset0:68 offset1:193
	s_mov_b32 s2, 0xa000
	v_add_co_u32_e32 v22, vcc, s2, v254
	v_addc_co_u32_e32 v23, vcc, 0, v204, vcc
	s_mov_b32 s2, 0xd000
	s_waitcnt vmcnt(0) lgkmcnt(1)
	v_mul_f32_e32 v2, v9, v1
	v_mul_f32_e32 v3, v8, v1
	v_fma_f32 v2, v8, v0, -v2
	v_fmac_f32_e32 v3, v9, v0
	global_load_dwordx2 v[8:9], v[20:21], off offset:848
	s_waitcnt vmcnt(0) lgkmcnt(0)
	v_mul_f32_e32 v0, v13, v9
	v_mul_f32_e32 v1, v12, v9
	v_fma_f32 v0, v12, v8, -v0
	v_fmac_f32_e32 v1, v13, v8
	global_load_dwordx2 v[8:9], v[18:19], off offset:1000
	s_waitcnt vmcnt(0)
	v_mul_f32_e32 v12, v7, v9
	v_mul_f32_e32 v13, v6, v9
	v_fma_f32 v12, v6, v8, -v12
	v_fmac_f32_e32 v13, v7, v8
	global_load_dwordx2 v[6:7], v[22:23], off offset:40
	s_waitcnt vmcnt(0)
	v_mul_f32_e32 v8, v11, v7
	v_mul_f32_e32 v17, v10, v7
	v_fma_f32 v16, v10, v6, -v8
	v_fmac_f32_e32 v17, v11, v6
	global_load_dwordx2 v[6:7], v[20:21], off offset:1848
	global_load_dwordx2 v[10:11], v[18:19], off offset:2000
	s_waitcnt vmcnt(1)
	v_mul_f32_e32 v8, v15, v7
	v_mul_f32_e32 v25, v14, v7
	v_fma_f32 v24, v14, v6, -v8
	v_fmac_f32_e32 v25, v15, v6
	ds_read2_b64 v[6:9], v57 offset0:122 offset1:247
	s_waitcnt vmcnt(0) lgkmcnt(0)
	v_mul_f32_e32 v14, v7, v11
	v_mul_f32_e32 v15, v6, v11
	v_fma_f32 v14, v6, v10, -v14
	v_fmac_f32_e32 v15, v7, v10
	global_load_dwordx2 v[6:7], v[22:23], off offset:1040
	ds_write2_b64 v74, v[12:13], v[14:15] offset0:125 offset1:250
	ds_read2_b64 v[10:13], v66 offset0:92 offset1:217
	s_waitcnt vmcnt(0) lgkmcnt(0)
	v_mul_f32_e32 v14, v11, v7
	v_mul_f32_e32 v15, v10, v7
	v_fma_f32 v14, v10, v6, -v14
	v_fmac_f32_e32 v15, v11, v6
	v_add_u32_e32 v6, 0x2800, v74
	ds_write2_b64 v6, v[16:17], v[14:15] offset0:95 offset1:220
	global_load_dwordx2 v[6:7], v[20:21], off offset:2848
	ds_read2_b64 v[14:17], v27 offset0:62 offset1:187
	s_waitcnt vmcnt(0) lgkmcnt(0)
	v_mul_f32_e32 v10, v15, v7
	v_mul_f32_e32 v11, v14, v7
	v_fma_f32 v10, v14, v6, -v10
	v_fmac_f32_e32 v11, v15, v6
	v_add_u32_e32 v6, 0x5000, v74
	ds_write2_b64 v6, v[24:25], v[10:11] offset0:65 offset1:190
	global_load_dwordx2 v[6:7], v[18:19], off offset:3000
	s_waitcnt vmcnt(0)
	v_mul_f32_e32 v10, v9, v7
	v_mul_f32_e32 v11, v8, v7
	v_fma_f32 v10, v8, v6, -v10
	v_fmac_f32_e32 v11, v9, v6
	global_load_dwordx2 v[6:7], v[22:23], off offset:2040
	s_waitcnt vmcnt(0)
	v_mul_f32_e32 v8, v13, v7
	v_mul_f32_e32 v15, v12, v7
	v_fma_f32 v14, v12, v6, -v8
	v_fmac_f32_e32 v15, v13, v6
	global_load_dwordx2 v[6:7], v[20:21], off offset:3848
	global_load_dwordx2 v[12:13], v[18:19], off offset:4000
	v_add_co_u32_e32 v18, vcc, s2, v254
	v_addc_co_u32_e32 v19, vcc, 0, v204, vcc
	s_mov_b32 s2, 0x8000
	s_waitcnt vmcnt(1)
	v_mul_f32_e32 v8, v17, v7
	v_mul_f32_e32 v21, v16, v7
	v_fma_f32 v20, v16, v6, -v8
	v_fmac_f32_e32 v21, v17, v6
	ds_read2_b64 v[6:9], v56 offset0:116 offset1:241
	s_waitcnt vmcnt(0) lgkmcnt(0)
	v_mul_f32_e32 v16, v7, v13
	v_mul_f32_e32 v17, v6, v13
	v_fma_f32 v16, v6, v12, -v16
	v_fmac_f32_e32 v17, v7, v12
	v_add_u32_e32 v6, 0x800, v74
	ds_write2_b64 v6, v[10:11], v[16:17] offset0:119 offset1:244
	global_load_dwordx2 v[6:7], v[22:23], off offset:3040
	ds_read2_b64 v[10:13], v65 offset0:86 offset1:211
	s_waitcnt vmcnt(0) lgkmcnt(0)
	v_mul_f32_e32 v16, v11, v7
	v_mul_f32_e32 v17, v10, v7
	v_fma_f32 v16, v10, v6, -v16
	v_fmac_f32_e32 v17, v11, v6
	global_load_dwordx2 v[6:7], v[18:19], off offset:752
	ds_write2_b64 v26, v[14:15], v[16:17] offset0:89 offset1:214
	ds_read2_b64 v[14:17], v60 offset0:56 offset1:181
	s_waitcnt vmcnt(0) lgkmcnt(0)
	v_mul_f32_e32 v10, v15, v7
	v_mul_f32_e32 v11, v14, v7
	v_fma_f32 v10, v14, v6, -v10
	v_fmac_f32_e32 v11, v15, v6
	v_add_u32_e32 v6, 0x5800, v74
	ds_write2_b64 v6, v[20:21], v[10:11] offset0:59 offset1:184
	v_add_co_u32_e32 v10, vcc, s2, v254
	v_addc_co_u32_e32 v11, vcc, 0, v204, vcc
	global_load_dwordx2 v[6:7], v[10:11], off offset:2232
	s_mov_b32 s2, 0xb000
	global_load_dwordx2 v[10:11], v[10:11], off offset:3232
	v_add_co_u32_e32 v24, vcc, s2, v254
	v_addc_co_u32_e32 v25, vcc, 0, v204, vcc
	s_mov_b32 s2, 0xe000
	s_waitcnt vmcnt(1)
	v_mul_f32_e32 v14, v9, v7
	v_mul_f32_e32 v15, v8, v7
	v_fma_f32 v14, v8, v6, -v14
	v_fmac_f32_e32 v15, v9, v6
	global_load_dwordx2 v[6:7], v[22:23], off offset:4040
	s_waitcnt vmcnt(0)
	v_mul_f32_e32 v8, v13, v7
	v_mul_f32_e32 v21, v12, v7
	v_fma_f32 v20, v12, v6, -v8
	v_fmac_f32_e32 v21, v13, v6
	global_load_dwordx2 v[6:7], v[18:19], off offset:1752
	s_waitcnt vmcnt(0)
	v_mul_f32_e32 v8, v17, v7
	v_mul_f32_e32 v23, v16, v7
	v_fma_f32 v22, v16, v6, -v8
	v_fmac_f32_e32 v23, v17, v6
	ds_read2_b64 v[6:9], v59 offset0:110 offset1:235
	s_waitcnt lgkmcnt(0)
	v_mul_f32_e32 v12, v7, v11
	v_mul_f32_e32 v13, v6, v11
	v_fma_f32 v12, v6, v10, -v12
	v_fmac_f32_e32 v13, v7, v10
	v_add_u32_e32 v6, 0x1000, v74
	ds_write2_b64 v6, v[14:15], v[12:13] offset0:113 offset1:238
	global_load_dwordx2 v[6:7], v[24:25], off offset:944
	ds_read2_b64 v[10:13], v28 offset0:80 offset1:205
	s_waitcnt vmcnt(0) lgkmcnt(0)
	v_mul_f32_e32 v14, v11, v7
	v_mul_f32_e32 v15, v10, v7
	v_fma_f32 v14, v10, v6, -v14
	v_fmac_f32_e32 v15, v11, v6
	v_add_u32_e32 v6, 0x3800, v74
	ds_write2_b64 v6, v[20:21], v[14:15] offset0:83 offset1:208
	global_load_dwordx2 v[6:7], v[18:19], off offset:2752
	ds_read2_b64 v[14:17], v58 offset0:50 offset1:175
	s_waitcnt vmcnt(0) lgkmcnt(0)
	v_mul_f32_e32 v10, v15, v7
	v_mul_f32_e32 v11, v14, v7
	v_fma_f32 v10, v14, v6, -v10
	v_fmac_f32_e32 v11, v15, v6
	global_load_dwordx2 v[6:7], v[4:5], off offset:136
	ds_write2_b64 v35, v[22:23], v[10:11] offset0:53 offset1:178
	s_waitcnt vmcnt(0)
	v_mul_f32_e32 v10, v9, v7
	v_mul_f32_e32 v11, v8, v7
	v_fma_f32 v10, v8, v6, -v10
	v_fmac_f32_e32 v11, v9, v6
	global_load_dwordx2 v[6:7], v[24:25], off offset:1944
	s_waitcnt vmcnt(0)
	v_mul_f32_e32 v8, v13, v7
	v_mul_f32_e32 v15, v12, v7
	v_fma_f32 v14, v12, v6, -v8
	v_fmac_f32_e32 v15, v13, v6
	global_load_dwordx2 v[6:7], v[18:19], off offset:3752
	global_load_dwordx2 v[12:13], v[4:5], off offset:1136
	s_waitcnt vmcnt(1)
	v_mul_f32_e32 v8, v17, v7
	v_mul_f32_e32 v19, v16, v7
	v_fma_f32 v18, v16, v6, -v8
	v_fmac_f32_e32 v19, v17, v6
	ds_read2_b64 v[6:9], v228 offset0:104 offset1:229
	global_load_dwordx2 v[4:5], v[4:5], off offset:2136
	s_waitcnt vmcnt(1) lgkmcnt(0)
	v_mul_f32_e32 v16, v7, v13
	v_mul_f32_e32 v17, v6, v13
	v_fma_f32 v16, v6, v12, -v16
	v_fmac_f32_e32 v17, v7, v12
	global_load_dwordx2 v[6:7], v[24:25], off offset:2944
	ds_write2_b64 v36, v[10:11], v[16:17] offset0:107 offset1:232
	v_add_u32_e32 v36, 0x4400, v74
	ds_read2_b64 v[10:13], v36 offset0:74 offset1:199
	s_waitcnt vmcnt(0) lgkmcnt(0)
	v_mul_f32_e32 v16, v11, v7
	v_mul_f32_e32 v17, v10, v7
	v_fma_f32 v16, v10, v6, -v16
	v_fmac_f32_e32 v17, v11, v6
	v_add_u32_e32 v6, 0x4000, v74
	ds_write2_b64 v6, v[14:15], v[16:17] offset0:77 offset1:202
	v_add_co_u32_e32 v6, vcc, s2, v254
	v_addc_co_u32_e32 v7, vcc, 0, v204, vcc
	global_load_dwordx2 v[10:11], v[6:7], off offset:656
	ds_read2_b64 v[14:17], v45 offset0:44 offset1:169
	v_mov_b32_e32 v254, v28
	s_mov_b32 s2, 0x9cbd821e
	s_mov_b32 s3, 0x3f3179ec
	s_waitcnt vmcnt(0) lgkmcnt(0)
	v_mul_f32_e32 v20, v15, v11
	v_mul_f32_e32 v21, v14, v11
	v_fma_f32 v20, v14, v10, -v20
	v_fmac_f32_e32 v21, v15, v10
	v_add_u32_e32 v10, 0x6800, v74
	ds_write2_b64 v10, v[18:19], v[20:21] offset0:47 offset1:172
	v_mul_f32_e32 v10, v9, v5
	v_mul_f32_e32 v11, v8, v5
	v_fma_f32 v10, v8, v4, -v10
	v_fmac_f32_e32 v11, v9, v4
	ds_write2_b64 v34, v[10:11], v[2:3] offset0:101 offset1:226
	global_load_dwordx2 v[2:3], v[24:25], off offset:3944
	s_waitcnt vmcnt(0)
	v_mul_f32_e32 v4, v13, v3
	v_mul_f32_e32 v5, v12, v3
	v_fma_f32 v4, v12, v2, -v4
	v_fmac_f32_e32 v5, v13, v2
	ds_write2_b64 v37, v[4:5], v[0:1] offset0:71 offset1:196
	global_load_dwordx2 v[0:1], v[6:7], off offset:1656
	s_waitcnt vmcnt(0)
	v_mul_f32_e32 v2, v17, v1
	v_mul_f32_e32 v3, v16, v1
	v_fma_f32 v2, v16, v0, -v2
	v_fmac_f32_e32 v3, v17, v0
	ds_write_b64 v74, v[2:3] offset:29000
	s_waitcnt lgkmcnt(0)
	s_barrier
	ds_read2_b64 v[208:211], v74 offset1:125
	ds_read2_b64 v[0:3], v72 offset0:98 offset1:223
	ds_read2_b64 v[4:7], v71 offset0:68 offset1:193
	;; [unrolled: 1-line block ×6, first 2 shown]
	s_waitcnt lgkmcnt(4)
	v_add_f32_e32 v41, v0, v4
	v_fma_f32 v42, -0.5, v41, v208
	v_sub_f32_e32 v41, v1, v5
	v_mov_b32_e32 v46, v42
	v_fmac_f32_e32 v46, 0xbf5db3d7, v41
	v_fmac_f32_e32 v42, 0x3f5db3d7, v41
	v_add_f32_e32 v41, v209, v1
	v_add_f32_e32 v1, v1, v5
	v_fma_f32 v43, -0.5, v1, v209
	v_add_f32_e32 v40, v208, v0
	v_sub_f32_e32 v0, v0, v4
	v_mov_b32_e32 v47, v43
	v_add_f32_e32 v1, v2, v6
	v_fmac_f32_e32 v47, 0x3f5db3d7, v0
	v_fmac_f32_e32 v43, 0xbf5db3d7, v0
	v_add_f32_e32 v0, v210, v2
	v_fma_f32 v210, -0.5, v1, v210
	v_add_f32_e32 v40, v40, v4
	v_sub_f32_e32 v1, v3, v7
	v_mov_b32_e32 v4, v210
	v_fmac_f32_e32 v4, 0xbf5db3d7, v1
	v_fmac_f32_e32 v210, 0x3f5db3d7, v1
	v_add_f32_e32 v1, v211, v3
	v_add_f32_e32 v3, v3, v7
	v_fmac_f32_e32 v211, -0.5, v3
	s_waitcnt lgkmcnt(1)
	v_add_f32_e32 v3, v8, v12
	v_add_f32_e32 v0, v0, v6
	;; [unrolled: 1-line block ×3, first 2 shown]
	v_sub_f32_e32 v2, v2, v6
	v_fma_f32 v6, -0.5, v3, v204
	v_add_f32_e32 v7, v9, v13
	v_add_f32_e32 v41, v41, v5
	v_mov_b32_e32 v5, v211
	v_sub_f32_e32 v3, v9, v13
	v_mov_b32_e32 v48, v6
	v_fma_f32 v7, -0.5, v7, v205
	v_fmac_f32_e32 v5, 0x3f5db3d7, v2
	v_fmac_f32_e32 v211, 0xbf5db3d7, v2
	v_add_f32_e32 v2, v204, v8
	v_fmac_f32_e32 v48, 0xbf5db3d7, v3
	v_fmac_f32_e32 v6, 0x3f5db3d7, v3
	v_add_f32_e32 v3, v205, v9
	v_sub_f32_e32 v8, v8, v12
	v_mov_b32_e32 v49, v7
	v_add_f32_e32 v9, v10, v14
	ds_read2_b64 v[16:19], v65 offset0:86 offset1:211
	ds_read2_b64 v[20:23], v60 offset0:56 offset1:181
	;; [unrolled: 1-line block ×4, first 2 shown]
	v_fmac_f32_e32 v49, 0x3f5db3d7, v8
	v_fmac_f32_e32 v7, 0xbf5db3d7, v8
	v_add_f32_e32 v8, v206, v10
	v_fma_f32 v206, -0.5, v9, v206
	v_add_f32_e32 v2, v2, v12
	v_sub_f32_e32 v9, v11, v15
	v_mov_b32_e32 v12, v206
	v_fmac_f32_e32 v12, 0xbf5db3d7, v9
	v_fmac_f32_e32 v206, 0x3f5db3d7, v9
	v_add_f32_e32 v9, v207, v11
	v_add_f32_e32 v11, v11, v15
	v_fmac_f32_e32 v207, -0.5, v11
	s_waitcnt lgkmcnt(2)
	v_add_f32_e32 v11, v16, v20
	v_add_f32_e32 v8, v8, v14
	;; [unrolled: 1-line block ×3, first 2 shown]
	v_sub_f32_e32 v10, v10, v14
	v_fma_f32 v14, -0.5, v11, v200
	v_add_f32_e32 v15, v17, v21
	ds_read2_b64 v[28:31], v58 offset0:50 offset1:175
	v_add_f32_e32 v3, v3, v13
	v_mov_b32_e32 v13, v207
	v_sub_f32_e32 v11, v17, v21
	v_mov_b32_e32 v50, v14
	v_fma_f32 v15, -0.5, v15, v201
	v_fmac_f32_e32 v13, 0x3f5db3d7, v10
	v_fmac_f32_e32 v207, 0xbf5db3d7, v10
	v_add_f32_e32 v10, v200, v16
	v_fmac_f32_e32 v50, 0xbf5db3d7, v11
	v_fmac_f32_e32 v14, 0x3f5db3d7, v11
	v_add_f32_e32 v11, v201, v17
	v_sub_f32_e32 v16, v16, v20
	v_mov_b32_e32 v51, v15
	v_add_f32_e32 v17, v18, v22
	v_fmac_f32_e32 v51, 0x3f5db3d7, v16
	v_fmac_f32_e32 v15, 0xbf5db3d7, v16
	v_add_f32_e32 v16, v202, v18
	v_fma_f32 v202, -0.5, v17, v202
	v_add_f32_e32 v10, v10, v20
	v_sub_f32_e32 v17, v19, v23
	v_mov_b32_e32 v20, v202
	v_fmac_f32_e32 v20, 0xbf5db3d7, v17
	v_fmac_f32_e32 v202, 0x3f5db3d7, v17
	v_add_f32_e32 v17, v203, v19
	v_add_f32_e32 v19, v19, v23
	v_fmac_f32_e32 v203, -0.5, v19
	s_waitcnt lgkmcnt(0)
	v_add_f32_e32 v19, v24, v28
	v_add_f32_e32 v16, v16, v22
	;; [unrolled: 1-line block ×3, first 2 shown]
	v_sub_f32_e32 v18, v18, v22
	v_fma_f32 v22, -0.5, v19, v196
	v_add_f32_e32 v23, v25, v29
	ds_read2_b64 v[192:195], v228 offset0:104 offset1:229
	ds_read2_b64 v[32:35], v36 offset0:74 offset1:199
	v_mov_b32_e32 v58, v36
	ds_read2_b64 v[36:39], v45 offset0:44 offset1:169
	v_add_f32_e32 v11, v11, v21
	v_mov_b32_e32 v21, v203
	v_sub_f32_e32 v19, v25, v29
	v_mov_b32_e32 v52, v22
	v_fma_f32 v23, -0.5, v23, v197
	v_fmac_f32_e32 v21, 0x3f5db3d7, v18
	v_fmac_f32_e32 v203, 0xbf5db3d7, v18
	v_add_f32_e32 v18, v196, v24
	v_fmac_f32_e32 v52, 0xbf5db3d7, v19
	v_fmac_f32_e32 v22, 0x3f5db3d7, v19
	v_add_f32_e32 v19, v197, v25
	v_sub_f32_e32 v24, v24, v28
	v_mov_b32_e32 v53, v23
	v_add_f32_e32 v25, v26, v30
	v_fmac_f32_e32 v53, 0x3f5db3d7, v24
	v_fmac_f32_e32 v23, 0xbf5db3d7, v24
	v_add_f32_e32 v24, v198, v26
	v_fma_f32 v198, -0.5, v25, v198
	v_add_f32_e32 v18, v18, v28
	v_sub_f32_e32 v25, v27, v31
	v_mov_b32_e32 v28, v198
	v_fmac_f32_e32 v28, 0xbf5db3d7, v25
	v_fmac_f32_e32 v198, 0x3f5db3d7, v25
	v_add_f32_e32 v25, v199, v27
	v_add_f32_e32 v27, v27, v31
	v_fmac_f32_e32 v199, -0.5, v27
	s_waitcnt lgkmcnt(0)
	v_add_f32_e32 v27, v32, v36
	v_add_f32_e32 v24, v24, v30
	v_add_f32_e32 v25, v25, v31
	v_sub_f32_e32 v26, v26, v30
	v_fma_f32 v30, -0.5, v27, v192
	v_add_f32_e32 v31, v33, v37
	v_add_f32_e32 v19, v19, v29
	v_mov_b32_e32 v29, v199
	v_sub_f32_e32 v27, v33, v37
	v_mov_b32_e32 v54, v30
	v_fma_f32 v31, -0.5, v31, v193
	v_fmac_f32_e32 v29, 0x3f5db3d7, v26
	v_fmac_f32_e32 v199, 0xbf5db3d7, v26
	v_add_f32_e32 v26, v192, v32
	v_fmac_f32_e32 v54, 0xbf5db3d7, v27
	v_fmac_f32_e32 v30, 0x3f5db3d7, v27
	v_add_f32_e32 v27, v193, v33
	v_sub_f32_e32 v32, v32, v36
	v_mov_b32_e32 v55, v31
	v_add_f32_e32 v33, v34, v38
	v_fmac_f32_e32 v55, 0x3f5db3d7, v32
	v_fmac_f32_e32 v31, 0xbf5db3d7, v32
	v_add_f32_e32 v32, v194, v34
	v_fma_f32 v194, -0.5, v33, v194
	v_add_f32_e32 v26, v26, v36
	v_sub_f32_e32 v33, v35, v39
	v_mov_b32_e32 v36, v194
	v_fmac_f32_e32 v36, 0xbf5db3d7, v33
	v_fmac_f32_e32 v194, 0x3f5db3d7, v33
	v_add_f32_e32 v33, v195, v35
	v_add_f32_e32 v35, v35, v39
	v_fmac_f32_e32 v195, -0.5, v35
	v_add_f32_e32 v27, v27, v37
	v_sub_f32_e32 v34, v34, v38
	v_mov_b32_e32 v37, v195
	v_fmac_f32_e32 v37, 0x3f5db3d7, v34
	v_fmac_f32_e32 v195, 0xbf5db3d7, v34
	s_barrier
	buffer_load_dword v34, off, s[24:27], 0 offset:436 ; 4-byte Folded Reload
	s_waitcnt vmcnt(0)
	ds_write2_b64 v34, v[40:41], v[46:47] offset1:1
	ds_write_b64 v34, v[42:43] offset:16
	buffer_load_dword v34, off, s[24:27], 0 offset:432 ; 4-byte Folded Reload
	s_waitcnt vmcnt(0)
	ds_write2_b64 v34, v[0:1], v[4:5] offset1:1
	ds_write_b64 v34, v[210:211] offset:16
	;; [unrolled: 4-line block ×9, first 2 shown]
	buffer_load_dword v0, off, s[24:27], 0 offset:400 ; 4-byte Folded Reload
	v_add_f32_e32 v32, v32, v38
	v_add_f32_e32 v33, v33, v39
	s_waitcnt vmcnt(0)
	ds_write2_b64 v0, v[32:33], v[36:37] offset1:1
	ds_write_b64 v0, v[194:195] offset:16
	s_waitcnt lgkmcnt(0)
	s_barrier
	ds_read2_b64 v[200:203], v74 offset1:125
	ds_read2_b64 v[0:3], v59 offset0:110 offset1:235
	ds_read2_b64 v[4:7], v66 offset0:92 offset1:217
	;; [unrolled: 1-line block ×5, first 2 shown]
	s_waitcnt lgkmcnt(4)
	v_mul_f32_e32 v44, v105, v1
	v_fmac_f32_e32 v44, v104, v0
	v_mul_f32_e32 v0, v105, v0
	v_fma_f32 v0, v104, v1, -v0
	s_waitcnt lgkmcnt(3)
	v_mul_f32_e32 v1, v107, v5
	v_fmac_f32_e32 v1, v106, v4
	v_mul_f32_e32 v4, v107, v4
	v_fma_f32 v4, v106, v5, -v4
	;; [unrolled: 5-line block ×4, first 2 shown]
	v_mul_f32_e32 v13, v109, v3
	v_fmac_f32_e32 v13, v108, v2
	v_mul_f32_e32 v2, v109, v2
	v_fma_f32 v2, v108, v3, -v2
	v_mul_f32_e32 v3, v111, v7
	v_fmac_f32_e32 v3, v110, v6
	v_mul_f32_e32 v6, v111, v6
	v_fma_f32 v6, v110, v7, -v6
	v_mul_f32_e32 v7, v101, v11
	ds_read2_b64 v[16:19], v228 offset0:104 offset1:229
	ds_read2_b64 v[20:23], v65 offset0:86 offset1:211
	;; [unrolled: 1-line block ×3, first 2 shown]
	v_fmac_f32_e32 v7, v100, v10
	v_mul_f32_e32 v10, v101, v10
	v_fma_f32 v10, v100, v11, -v10
	v_mul_f32_e32 v11, v103, v15
	v_fmac_f32_e32 v11, v102, v14
	v_mul_f32_e32 v14, v103, v14
	ds_read2_b64 v[28:31], v75 offset0:50 offset1:175
	v_fma_f32 v14, v102, v15, -v14
	s_waitcnt lgkmcnt(3)
	v_mul_f32_e32 v15, v121, v17
	v_fmac_f32_e32 v15, v120, v16
	v_mul_f32_e32 v16, v121, v16
	v_fma_f32 v16, v120, v17, -v16
	s_waitcnt lgkmcnt(2)
	v_mul_f32_e32 v17, v123, v21
	v_fmac_f32_e32 v17, v122, v20
	v_mul_f32_e32 v20, v123, v20
	v_fma_f32 v50, v122, v21, -v20
	s_waitcnt lgkmcnt(1)
	v_mul_f32_e32 v20, v113, v24
	v_fma_f32 v52, v112, v25, -v20
	s_waitcnt lgkmcnt(0)
	v_mul_f32_e32 v53, v115, v29
	v_mul_f32_e32 v20, v115, v28
	ds_read2_b64 v[192:195], v56 offset0:116 offset1:241
	ds_read2_b64 v[32:35], v72 offset0:98 offset1:223
	v_fmac_f32_e32 v53, v114, v28
	v_fma_f32 v28, v114, v29, -v20
	v_mul_f32_e32 v29, v125, v19
	v_fmac_f32_e32 v29, v124, v18
	v_mul_f32_e32 v18, v125, v18
	v_fma_f32 v54, v124, v19, -v18
	v_mul_f32_e32 v18, v127, v22
	v_mov_b32_e32 v205, v72
	ds_read2_b64 v[36:39], v254 offset0:80 offset1:205
	ds_read2_b64 v[40:43], v255 offset0:62 offset1:187
	;; [unrolled: 1-line block ×3, first 2 shown]
	v_fma_f32 v72, v126, v23, -v18
	v_mul_f32_e32 v18, v117, v26
	v_mov_b32_e32 v207, v75
	v_fma_f32 v75, v116, v27, -v18
	v_mul_f32_e32 v97, v119, v31
	v_mul_f32_e32 v18, v119, v30
	v_fmac_f32_e32 v97, v118, v30
	v_fma_f32 v30, v118, v31, -v18
	s_waitcnt lgkmcnt(3)
	v_mul_f32_e32 v31, v133, v33
	v_mul_f32_e32 v18, v133, v32
	v_fmac_f32_e32 v31, v132, v32
	v_fma_f32 v32, v132, v33, -v18
	s_waitcnt lgkmcnt(2)
	;; [unrolled: 5-line block ×4, first 2 shown]
	v_mul_f32_e32 v41, v131, v47
	v_mul_f32_e32 v18, v131, v46
	v_fmac_f32_e32 v41, v130, v46
	v_fma_f32 v46, v130, v47, -v18
	v_mul_f32_e32 v47, v141, v35
	v_mul_f32_e32 v18, v141, v34
	v_fmac_f32_e32 v47, v140, v34
	v_fma_f32 v34, v140, v35, -v18
	;; [unrolled: 4-line block ×5, first 2 shown]
	v_add_f32_e32 v18, v200, v44
	v_add_f32_e32 v18, v18, v1
	v_mul_f32_e32 v73, v117, v27
	v_add_f32_e32 v18, v18, v5
	v_fmac_f32_e32 v73, v116, v26
	v_add_f32_e32 v116, v18, v9
	v_add_f32_e32 v18, v1, v5
	v_fma_f32 v104, -0.5, v18, v200
	v_sub_f32_e32 v18, v0, v12
	v_mov_b32_e32 v118, v104
	v_fmac_f32_e32 v118, 0xbf737871, v18
	v_sub_f32_e32 v19, v4, v8
	v_sub_f32_e32 v20, v44, v1
	;; [unrolled: 1-line block ×3, first 2 shown]
	v_fmac_f32_e32 v104, 0x3f737871, v18
	v_fmac_f32_e32 v118, 0xbf167918, v19
	v_add_f32_e32 v20, v20, v21
	v_fmac_f32_e32 v104, 0x3f167918, v19
	v_mul_f32_e32 v51, v113, v25
	v_fmac_f32_e32 v118, 0x3e9e377a, v20
	v_fmac_f32_e32 v104, 0x3e9e377a, v20
	v_add_f32_e32 v20, v44, v9
	v_fmac_f32_e32 v51, v112, v24
	v_fma_f32 v112, -0.5, v20, v200
	v_mov_b32_e32 v114, v112
	v_fmac_f32_e32 v114, 0x3f737871, v19
	v_fmac_f32_e32 v112, 0xbf737871, v19
	;; [unrolled: 1-line block ×4, first 2 shown]
	v_add_f32_e32 v18, v201, v0
	v_add_f32_e32 v18, v18, v4
	;; [unrolled: 1-line block ×5, first 2 shown]
	v_fma_f32 v105, -0.5, v18, v201
	v_sub_f32_e32 v21, v5, v9
	v_sub_f32_e32 v9, v44, v9
	v_mov_b32_e32 v119, v105
	v_sub_f32_e32 v20, v1, v44
	v_fmac_f32_e32 v119, 0x3f737871, v9
	v_sub_f32_e32 v1, v1, v5
	v_sub_f32_e32 v5, v0, v4
	;; [unrolled: 1-line block ×3, first 2 shown]
	v_fmac_f32_e32 v105, 0xbf737871, v9
	v_fmac_f32_e32 v119, 0x3f167918, v1
	v_add_f32_e32 v5, v5, v18
	v_fmac_f32_e32 v105, 0xbf167918, v1
	v_fmac_f32_e32 v119, 0x3e9e377a, v5
	;; [unrolled: 1-line block ×3, first 2 shown]
	v_add_f32_e32 v5, v0, v12
	v_fma_f32 v113, -0.5, v5, v201
	v_mov_b32_e32 v115, v113
	v_fmac_f32_e32 v115, 0xbf737871, v1
	v_sub_f32_e32 v0, v4, v0
	v_sub_f32_e32 v4, v8, v12
	v_fmac_f32_e32 v113, 0x3f737871, v1
	v_fmac_f32_e32 v115, 0x3f167918, v9
	v_add_f32_e32 v0, v0, v4
	v_fmac_f32_e32 v113, 0xbf167918, v9
	v_fmac_f32_e32 v115, 0x3e9e377a, v0
	;; [unrolled: 1-line block ×3, first 2 shown]
	v_add_f32_e32 v0, v202, v13
	v_add_f32_e32 v0, v0, v3
	;; [unrolled: 1-line block ×5, first 2 shown]
	v_fma_f32 v110, -0.5, v0, v202
	v_sub_f32_e32 v0, v2, v14
	v_mov_b32_e32 v26, v110
	v_fmac_f32_e32 v26, 0xbf737871, v0
	v_sub_f32_e32 v1, v6, v10
	v_sub_f32_e32 v4, v13, v3
	;; [unrolled: 1-line block ×3, first 2 shown]
	v_fmac_f32_e32 v110, 0x3f737871, v0
	v_fmac_f32_e32 v26, 0xbf167918, v1
	v_add_f32_e32 v4, v4, v5
	v_fmac_f32_e32 v110, 0x3f167918, v1
	v_fmac_f32_e32 v26, 0x3e9e377a, v4
	;; [unrolled: 1-line block ×3, first 2 shown]
	v_add_f32_e32 v4, v13, v11
	v_fma_f32 v202, -0.5, v4, v202
	v_mov_b32_e32 v120, v202
	v_fmac_f32_e32 v120, 0x3f737871, v1
	v_fmac_f32_e32 v202, 0xbf737871, v1
	;; [unrolled: 1-line block ×4, first 2 shown]
	v_add_f32_e32 v0, v203, v2
	v_add_f32_e32 v0, v0, v6
	;; [unrolled: 1-line block ×5, first 2 shown]
	v_sub_f32_e32 v4, v3, v13
	v_sub_f32_e32 v5, v7, v11
	v_fma_f32 v111, -0.5, v0, v203
	v_add_f32_e32 v4, v4, v5
	v_sub_f32_e32 v0, v13, v11
	v_mov_b32_e32 v27, v111
	v_fmac_f32_e32 v120, 0x3e9e377a, v4
	v_fmac_f32_e32 v202, 0x3e9e377a, v4
	;; [unrolled: 1-line block ×3, first 2 shown]
	v_sub_f32_e32 v1, v3, v7
	v_sub_f32_e32 v3, v2, v6
	;; [unrolled: 1-line block ×3, first 2 shown]
	v_fmac_f32_e32 v111, 0xbf737871, v0
	v_fmac_f32_e32 v27, 0x3f167918, v1
	v_add_f32_e32 v3, v3, v4
	v_fmac_f32_e32 v111, 0xbf167918, v1
	v_fmac_f32_e32 v27, 0x3e9e377a, v3
	;; [unrolled: 1-line block ×3, first 2 shown]
	v_add_f32_e32 v3, v2, v14
	v_fmac_f32_e32 v203, -0.5, v3
	v_mov_b32_e32 v121, v203
	v_fmac_f32_e32 v121, 0xbf737871, v1
	v_fmac_f32_e32 v203, 0x3f737871, v1
	;; [unrolled: 1-line block ×4, first 2 shown]
	v_add_f32_e32 v0, v196, v15
	v_add_f32_e32 v0, v0, v17
	;; [unrolled: 1-line block ×4, first 2 shown]
	v_fmac_f32_e32 v114, 0x3e9e377a, v20
	v_fmac_f32_e32 v112, 0x3e9e377a, v20
	v_add_f32_e32 v20, v0, v53
	v_add_f32_e32 v0, v17, v51
	v_mul_f32_e32 v55, v127, v23
	v_sub_f32_e32 v2, v6, v2
	v_sub_f32_e32 v3, v10, v14
	v_fma_f32 v98, -0.5, v0, v196
	v_fmac_f32_e32 v55, v126, v22
	v_add_f32_e32 v2, v2, v3
	v_sub_f32_e32 v0, v16, v28
	v_mov_b32_e32 v22, v98
	v_fmac_f32_e32 v121, 0x3e9e377a, v2
	v_fmac_f32_e32 v203, 0x3e9e377a, v2
	v_fmac_f32_e32 v22, 0xbf737871, v0
	v_sub_f32_e32 v1, v50, v52
	v_sub_f32_e32 v2, v15, v17
	v_sub_f32_e32 v3, v53, v51
	v_fmac_f32_e32 v98, 0x3f737871, v0
	v_fmac_f32_e32 v22, 0xbf167918, v1
	v_add_f32_e32 v2, v2, v3
	v_fmac_f32_e32 v98, 0x3f167918, v1
	v_fmac_f32_e32 v22, 0x3e9e377a, v2
	v_fmac_f32_e32 v98, 0x3e9e377a, v2
	v_add_f32_e32 v2, v15, v53
	v_fma_f32 v100, -0.5, v2, v196
	v_mov_b32_e32 v102, v100
	v_fmac_f32_e32 v102, 0x3f737871, v1
	v_fmac_f32_e32 v100, 0xbf737871, v1
	v_fmac_f32_e32 v102, 0xbf167918, v0
	v_fmac_f32_e32 v100, 0x3f167918, v0
	v_add_f32_e32 v0, v197, v16
	v_add_f32_e32 v0, v0, v50
	v_add_f32_e32 v0, v0, v52
	v_add_f32_e32 v21, v0, v28
	v_add_f32_e32 v0, v50, v52
	v_sub_f32_e32 v2, v17, v15
	v_sub_f32_e32 v3, v51, v53
	v_fma_f32 v99, -0.5, v0, v197
	v_add_f32_e32 v2, v2, v3
	v_sub_f32_e32 v0, v15, v53
	v_mov_b32_e32 v23, v99
	v_fmac_f32_e32 v102, 0x3e9e377a, v2
	v_fmac_f32_e32 v100, 0x3e9e377a, v2
	v_fmac_f32_e32 v23, 0x3f737871, v0
	v_sub_f32_e32 v1, v17, v51
	v_sub_f32_e32 v2, v16, v50
	v_sub_f32_e32 v3, v28, v52
	v_fmac_f32_e32 v99, 0xbf737871, v0
	v_fmac_f32_e32 v23, 0x3f167918, v1
	v_add_f32_e32 v2, v2, v3
	v_fmac_f32_e32 v99, 0xbf167918, v1
	v_fmac_f32_e32 v23, 0x3e9e377a, v2
	v_fmac_f32_e32 v99, 0x3e9e377a, v2
	v_add_f32_e32 v2, v16, v28
	v_fma_f32 v101, -0.5, v2, v197
	v_mov_b32_e32 v103, v101
	v_fmac_f32_e32 v103, 0xbf737871, v1
	v_fmac_f32_e32 v101, 0x3f737871, v1
	v_fmac_f32_e32 v103, 0x3f167918, v0
	v_fmac_f32_e32 v101, 0xbf167918, v0
	v_add_f32_e32 v0, v198, v29
	v_add_f32_e32 v0, v0, v55
	v_add_f32_e32 v0, v0, v73
	v_add_f32_e32 v106, v0, v97
	v_add_f32_e32 v0, v55, v73
	v_sub_f32_e32 v2, v50, v16
	v_sub_f32_e32 v3, v52, v28
	v_fma_f32 v18, -0.5, v0, v198
	;; [unrolled: 30-line block ×3, first 2 shown]
	v_add_f32_e32 v2, v2, v3
	v_sub_f32_e32 v0, v29, v97
	v_mov_b32_e32 v109, v19
	v_fmac_f32_e32 v96, 0x3e9e377a, v2
	v_fmac_f32_e32 v198, 0x3e9e377a, v2
	;; [unrolled: 1-line block ×3, first 2 shown]
	v_sub_f32_e32 v1, v55, v73
	v_sub_f32_e32 v2, v54, v72
	;; [unrolled: 1-line block ×3, first 2 shown]
	v_fmac_f32_e32 v19, 0xbf737871, v0
	v_fmac_f32_e32 v109, 0x3f167918, v1
	v_add_f32_e32 v2, v2, v3
	v_fmac_f32_e32 v19, 0xbf167918, v1
	v_fmac_f32_e32 v109, 0x3e9e377a, v2
	;; [unrolled: 1-line block ×3, first 2 shown]
	v_add_f32_e32 v2, v54, v30
	v_fmac_f32_e32 v199, -0.5, v2
	v_mov_b32_e32 v97, v199
	v_fmac_f32_e32 v97, 0xbf737871, v1
	v_fmac_f32_e32 v199, 0x3f737871, v1
	v_fmac_f32_e32 v97, 0x3f167918, v0
	v_fmac_f32_e32 v199, 0xbf167918, v0
	v_add_f32_e32 v0, v192, v31
	v_add_f32_e32 v0, v0, v33
	v_add_f32_e32 v0, v0, v37
	v_add_f32_e32 v14, v0, v41
	v_add_f32_e32 v0, v33, v37
	v_sub_f32_e32 v2, v72, v54
	v_sub_f32_e32 v3, v75, v30
	v_fma_f32 v4, -0.5, v0, v192
	v_add_f32_e32 v2, v2, v3
	v_sub_f32_e32 v0, v32, v46
	v_mov_b32_e32 v16, v4
	v_fmac_f32_e32 v97, 0x3e9e377a, v2
	v_fmac_f32_e32 v199, 0x3e9e377a, v2
	v_fmac_f32_e32 v16, 0xbf737871, v0
	v_sub_f32_e32 v1, v36, v40
	v_sub_f32_e32 v2, v31, v33
	v_sub_f32_e32 v3, v41, v37
	v_fmac_f32_e32 v4, 0x3f737871, v0
	v_fmac_f32_e32 v16, 0xbf167918, v1
	v_add_f32_e32 v2, v2, v3
	v_fmac_f32_e32 v4, 0x3f167918, v1
	v_fmac_f32_e32 v16, 0x3e9e377a, v2
	v_fmac_f32_e32 v4, 0x3e9e377a, v2
	v_add_f32_e32 v2, v31, v41
	v_fma_f32 v6, -0.5, v2, v192
	v_mov_b32_e32 v8, v6
	v_fmac_f32_e32 v8, 0x3f737871, v1
	v_fmac_f32_e32 v6, 0xbf737871, v1
	v_fmac_f32_e32 v8, 0xbf167918, v0
	v_fmac_f32_e32 v6, 0x3f167918, v0
	v_add_f32_e32 v0, v193, v32
	v_add_f32_e32 v0, v0, v36
	v_add_f32_e32 v0, v0, v40
	v_add_f32_e32 v15, v0, v46
	v_add_f32_e32 v0, v36, v40
	v_sub_f32_e32 v2, v33, v31
	v_sub_f32_e32 v3, v37, v41
	v_fma_f32 v5, -0.5, v0, v193
	v_add_f32_e32 v2, v2, v3
	v_sub_f32_e32 v0, v31, v41
	v_mov_b32_e32 v17, v5
	v_fmac_f32_e32 v8, 0x3e9e377a, v2
	v_fmac_f32_e32 v6, 0x3e9e377a, v2
	v_fmac_f32_e32 v17, 0x3f737871, v0
	v_sub_f32_e32 v1, v33, v37
	v_sub_f32_e32 v2, v32, v36
	v_sub_f32_e32 v3, v46, v40
	v_fmac_f32_e32 v5, 0xbf737871, v0
	v_fmac_f32_e32 v17, 0x3f167918, v1
	v_add_f32_e32 v2, v2, v3
	v_fmac_f32_e32 v5, 0xbf167918, v1
	v_fmac_f32_e32 v17, 0x3e9e377a, v2
	v_fmac_f32_e32 v5, 0x3e9e377a, v2
	v_add_f32_e32 v2, v32, v46
	v_fma_f32 v7, -0.5, v2, v193
	;; [unrolled: 30-line block ×3, first 2 shown]
	v_mov_b32_e32 v2, v194
	v_fmac_f32_e32 v2, 0x3f737871, v3
	v_fmac_f32_e32 v194, 0xbf737871, v3
	;; [unrolled: 1-line block ×4, first 2 shown]
	v_add_f32_e32 v1, v195, v34
	v_sub_f32_e32 v11, v35, v47
	v_sub_f32_e32 v13, v39, v43
	v_add_f32_e32 v1, v1, v38
	v_add_f32_e32 v11, v11, v13
	;; [unrolled: 1-line block ×3, first 2 shown]
	v_fmac_f32_e32 v2, 0x3e9e377a, v11
	v_fmac_f32_e32 v194, 0x3e9e377a, v11
	v_add_f32_e32 v11, v1, v48
	v_add_f32_e32 v1, v38, v42
	v_fma_f32 v1, -0.5, v1, v195
	v_sub_f32_e32 v28, v47, v43
	v_mov_b32_e32 v13, v1
	v_fmac_f32_e32 v13, 0x3f737871, v28
	v_sub_f32_e32 v29, v35, v39
	v_sub_f32_e32 v3, v34, v38
	;; [unrolled: 1-line block ×3, first 2 shown]
	v_fmac_f32_e32 v1, 0xbf737871, v28
	v_fmac_f32_e32 v13, 0x3f167918, v29
	v_add_f32_e32 v3, v3, v30
	v_fmac_f32_e32 v1, 0xbf167918, v29
	v_fmac_f32_e32 v13, 0x3e9e377a, v3
	;; [unrolled: 1-line block ×3, first 2 shown]
	v_add_f32_e32 v3, v34, v48
	v_fmac_f32_e32 v195, -0.5, v3
	v_mov_b32_e32 v3, v195
	v_fmac_f32_e32 v3, 0xbf737871, v29
	v_fmac_f32_e32 v195, 0x3f737871, v29
	;; [unrolled: 1-line block ×4, first 2 shown]
	s_barrier
	buffer_load_dword v28, off, s[24:27], 0 offset:396 ; 4-byte Folded Reload
	s_waitcnt vmcnt(0)
	ds_write2_b64 v28, v[116:117], v[118:119] offset1:3
	ds_write2_b64 v28, v[114:115], v[112:113] offset0:6 offset1:9
	ds_write_b64 v28, v[104:105] offset:96
	buffer_load_dword v28, off, s[24:27], 0 offset:392 ; 4-byte Folded Reload
	s_waitcnt vmcnt(0)
	ds_write2_b64 v28, v[24:25], v[26:27] offset1:3
	ds_write2_b64 v28, v[120:121], v[202:203] offset0:6 offset1:9
	ds_write_b64 v28, v[110:111] offset:96
	;; [unrolled: 5-line block ×5, first 2 shown]
	buffer_load_dword v4, off, s[24:27], 0 offset:332 ; 4-byte Folded Reload
	v_sub_f32_e32 v30, v38, v34
	v_sub_f32_e32 v31, v42, v48
	v_add_f32_e32 v30, v30, v31
	v_fmac_f32_e32 v3, 0x3e9e377a, v30
	v_fmac_f32_e32 v195, 0x3e9e377a, v30
	s_waitcnt vmcnt(0)
	ds_write2_b64 v4, v[10:11], v[12:13] offset1:3
	ds_write2_b64 v4, v[2:3], v[194:195] offset0:6 offset1:9
	ds_write_b64 v4, v[0:1] offset:96
	s_waitcnt lgkmcnt(0)
	s_barrier
	ds_read2_b64 v[104:107], v74 offset1:125
	ds_read2_b64 v[0:3], v59 offset0:110 offset1:235
	ds_read2_b64 v[4:7], v66 offset0:92 offset1:217
	;; [unrolled: 1-line block ×14, first 2 shown]
	buffer_load_dword v50, off, s[24:27], 0 offset:268 ; 4-byte Folded Reload
	buffer_load_dword v51, off, s[24:27], 0 offset:272 ; 4-byte Folded Reload
	;; [unrolled: 1-line block ×4, first 2 shown]
	s_waitcnt lgkmcnt(3)
	v_mul_f32_e32 v73, v235, v35
	v_fmac_f32_e32 v73, v234, v34
	s_waitcnt lgkmcnt(1)
	v_mul_f32_e32 v115, v243, v43
	s_waitcnt lgkmcnt(0)
	v_mul_f32_e32 v117, v245, v49
	v_fmac_f32_e32 v117, v244, v48
	v_fmac_f32_e32 v115, v242, v42
	v_mov_b32_e32 v204, v71
	v_mov_b32_e32 v206, v57
	s_waitcnt vmcnt(2)
	v_mul_f32_e32 v44, v51, v1
	v_fmac_f32_e32 v44, v50, v0
	v_mul_f32_e32 v0, v51, v0
	v_fma_f32 v0, v50, v1, -v0
	s_waitcnt vmcnt(0)
	v_mul_f32_e32 v1, v53, v5
	v_fmac_f32_e32 v1, v52, v4
	v_mul_f32_e32 v4, v53, v4
	v_fma_f32 v4, v52, v5, -v4
	buffer_load_dword v50, off, s[24:27], 0 offset:252 ; 4-byte Folded Reload
	buffer_load_dword v51, off, s[24:27], 0 offset:256 ; 4-byte Folded Reload
	buffer_load_dword v52, off, s[24:27], 0 offset:260 ; 4-byte Folded Reload
	buffer_load_dword v53, off, s[24:27], 0 offset:264 ; 4-byte Folded Reload
	s_waitcnt vmcnt(2)
	v_mul_f32_e32 v5, v51, v9
	v_fmac_f32_e32 v5, v50, v8
	v_mul_f32_e32 v8, v51, v8
	v_fma_f32 v8, v50, v9, -v8
	s_waitcnt vmcnt(0)
	v_mul_f32_e32 v9, v53, v13
	v_fmac_f32_e32 v9, v52, v12
	v_mul_f32_e32 v12, v53, v12
	v_fma_f32 v12, v52, v13, -v12
	buffer_load_dword v50, off, s[24:27], 0 offset:316 ; 4-byte Folded Reload
	buffer_load_dword v51, off, s[24:27], 0 offset:320 ; 4-byte Folded Reload
	buffer_load_dword v52, off, s[24:27], 0 offset:324 ; 4-byte Folded Reload
	buffer_load_dword v53, off, s[24:27], 0 offset:328 ; 4-byte Folded Reload
	;; [unrolled: 14-line block ×4, first 2 shown]
	buffer_load_dword v108, off, s[24:27], 0 offset:300 ; 4-byte Folded Reload
	buffer_load_dword v109, off, s[24:27], 0 offset:304 ; 4-byte Folded Reload
	buffer_load_dword v110, off, s[24:27], 0 offset:308 ; 4-byte Folded Reload
	buffer_load_dword v111, off, s[24:27], 0 offset:312 ; 4-byte Folded Reload
	s_waitcnt vmcnt(6)
	v_mul_f32_e32 v50, v52, v17
	v_mul_f32_e32 v15, v52, v16
	v_fmac_f32_e32 v50, v51, v16
	v_fma_f32 v51, v51, v17, -v15
	s_waitcnt vmcnt(4)
	v_mul_f32_e32 v52, v54, v21
	v_mul_f32_e32 v15, v54, v20
	v_fmac_f32_e32 v52, v53, v20
	v_fma_f32 v20, v53, v21, -v15
	buffer_load_dword v53, off, s[24:27], 0 offset:500 ; 4-byte Folded Reload
	buffer_load_dword v54, off, s[24:27], 0 offset:504 ; 4-byte Folded Reload
	;; [unrolled: 1-line block ×4, first 2 shown]
	s_waitcnt vmcnt(6)
	v_mul_f32_e32 v21, v109, v25
	v_mul_f32_e32 v15, v109, v24
	v_fmac_f32_e32 v21, v108, v24
	v_fma_f32 v24, v108, v25, -v15
	s_waitcnt vmcnt(4)
	v_mul_f32_e32 v17, v111, v29
	v_mul_f32_e32 v15, v111, v28
	v_fmac_f32_e32 v17, v110, v28
	v_fma_f32 v25, v110, v29, -v15
	v_mul_f32_e32 v28, v251, v19
	v_mul_f32_e32 v15, v251, v18
	v_fmac_f32_e32 v28, v250, v18
	v_fma_f32 v18, v250, v19, -v15
	;; [unrolled: 4-line block ×3, first 2 shown]
	v_sub_f32_e32 v16, v4, v8
	s_waitcnt vmcnt(0)
	s_barrier
	v_mul_f32_e32 v23, v54, v27
	v_mul_f32_e32 v15, v54, v26
	v_fmac_f32_e32 v23, v53, v26
	v_fma_f32 v26, v53, v27, -v15
	v_mul_f32_e32 v15, v56, v30
	v_fma_f32 v29, v55, v31, -v15
	v_mul_f32_e32 v15, v239, v32
	v_mul_f32_e32 v27, v56, v31
	v_fma_f32 v31, v238, v33, -v15
	v_mul_f32_e32 v15, v241, v36
	v_fmac_f32_e32 v27, v55, v30
	v_mul_f32_e32 v30, v239, v33
	v_fma_f32 v33, v240, v37, -v15
	v_mul_f32_e32 v15, v247, v40
	v_fma_f32 v54, v246, v41, -v15
	;; [unrolled: 2-line block ×7, first 2 shown]
	v_add_f32_e32 v15, v104, v44
	v_add_f32_e32 v15, v15, v1
	;; [unrolled: 1-line block ×3, first 2 shown]
	v_mul_f32_e32 v35, v237, v39
	v_add_f32_e32 v112, v15, v9
	v_add_f32_e32 v15, v1, v5
	v_mul_f32_e32 v55, v249, v47
	v_fmac_f32_e32 v35, v236, v38
	v_fma_f32 v38, -0.5, v15, v104
	v_fmac_f32_e32 v30, v238, v32
	v_mul_f32_e32 v32, v241, v37
	v_fmac_f32_e32 v55, v248, v46
	v_sub_f32_e32 v15, v0, v12
	v_mov_b32_e32 v46, v38
	v_fmac_f32_e32 v32, v240, v36
	v_fmac_f32_e32 v46, 0xbf737871, v15
	v_sub_f32_e32 v34, v44, v1
	v_sub_f32_e32 v36, v9, v5
	v_fmac_f32_e32 v38, 0x3f737871, v15
	v_fmac_f32_e32 v46, 0xbf167918, v16
	v_add_f32_e32 v34, v34, v36
	v_fmac_f32_e32 v38, 0x3f167918, v16
	v_mul_f32_e32 v53, v247, v41
	v_fmac_f32_e32 v46, 0x3e9e377a, v34
	v_fmac_f32_e32 v38, 0x3e9e377a, v34
	v_add_f32_e32 v34, v44, v9
	v_fmac_f32_e32 v53, v246, v40
	v_fma_f32 v40, -0.5, v34, v104
	v_mov_b32_e32 v42, v40
	v_fmac_f32_e32 v42, 0x3f737871, v16
	v_fmac_f32_e32 v40, 0xbf737871, v16
	;; [unrolled: 1-line block ×4, first 2 shown]
	v_add_f32_e32 v15, v105, v0
	v_add_f32_e32 v15, v15, v4
	;; [unrolled: 1-line block ×5, first 2 shown]
	v_fma_f32 v39, -0.5, v15, v105
	v_sub_f32_e32 v36, v5, v9
	v_sub_f32_e32 v9, v44, v9
	v_mov_b32_e32 v47, v39
	v_sub_f32_e32 v34, v1, v44
	v_fmac_f32_e32 v47, 0x3f737871, v9
	v_sub_f32_e32 v1, v1, v5
	v_sub_f32_e32 v5, v0, v4
	;; [unrolled: 1-line block ×3, first 2 shown]
	v_fmac_f32_e32 v39, 0xbf737871, v9
	v_fmac_f32_e32 v47, 0x3f167918, v1
	v_add_f32_e32 v5, v5, v15
	v_fmac_f32_e32 v39, 0xbf167918, v1
	v_fmac_f32_e32 v47, 0x3e9e377a, v5
	;; [unrolled: 1-line block ×3, first 2 shown]
	v_add_f32_e32 v5, v0, v12
	v_fma_f32 v41, -0.5, v5, v105
	v_mov_b32_e32 v43, v41
	v_fmac_f32_e32 v43, 0xbf737871, v1
	v_sub_f32_e32 v0, v4, v0
	v_sub_f32_e32 v4, v8, v12
	v_fmac_f32_e32 v41, 0x3f737871, v1
	v_fmac_f32_e32 v43, 0x3f167918, v9
	v_add_f32_e32 v0, v0, v4
	v_fmac_f32_e32 v41, 0xbf167918, v9
	v_fmac_f32_e32 v43, 0x3e9e377a, v0
	;; [unrolled: 1-line block ×3, first 2 shown]
	v_add_f32_e32 v0, v106, v13
	v_add_f32_e32 v0, v0, v3
	v_add_f32_e32 v0, v0, v7
	v_add_f32_e32 v108, v0, v11
	v_add_f32_e32 v0, v3, v7
	v_add_f32_e32 v34, v34, v36
	v_fma_f32 v36, -0.5, v0, v106
	v_sub_f32_e32 v0, v2, v14
	v_mov_b32_e32 v110, v36
	v_fmac_f32_e32 v110, 0xbf737871, v0
	v_sub_f32_e32 v1, v6, v10
	v_sub_f32_e32 v4, v13, v3
	;; [unrolled: 1-line block ×3, first 2 shown]
	v_fmac_f32_e32 v36, 0x3f737871, v0
	v_fmac_f32_e32 v110, 0xbf167918, v1
	v_add_f32_e32 v4, v4, v5
	v_fmac_f32_e32 v36, 0x3f167918, v1
	v_fmac_f32_e32 v110, 0x3e9e377a, v4
	;; [unrolled: 1-line block ×3, first 2 shown]
	v_add_f32_e32 v4, v13, v11
	v_fma_f32 v106, -0.5, v4, v106
	v_mov_b32_e32 v104, v106
	v_fmac_f32_e32 v104, 0x3f737871, v1
	v_fmac_f32_e32 v106, 0xbf737871, v1
	;; [unrolled: 1-line block ×4, first 2 shown]
	v_add_f32_e32 v0, v107, v2
	v_add_f32_e32 v0, v0, v6
	;; [unrolled: 1-line block ×5, first 2 shown]
	v_sub_f32_e32 v4, v3, v13
	v_sub_f32_e32 v5, v7, v11
	v_fma_f32 v37, -0.5, v0, v107
	v_add_f32_e32 v4, v4, v5
	v_sub_f32_e32 v0, v13, v11
	v_mov_b32_e32 v111, v37
	v_fmac_f32_e32 v104, 0x3e9e377a, v4
	v_fmac_f32_e32 v106, 0x3e9e377a, v4
	;; [unrolled: 1-line block ×3, first 2 shown]
	v_sub_f32_e32 v1, v3, v7
	v_sub_f32_e32 v3, v2, v6
	;; [unrolled: 1-line block ×3, first 2 shown]
	v_fmac_f32_e32 v37, 0xbf737871, v0
	v_fmac_f32_e32 v111, 0x3f167918, v1
	v_add_f32_e32 v3, v3, v4
	v_fmac_f32_e32 v37, 0xbf167918, v1
	v_fmac_f32_e32 v111, 0x3e9e377a, v3
	;; [unrolled: 1-line block ×3, first 2 shown]
	v_add_f32_e32 v3, v2, v14
	v_fmac_f32_e32 v107, -0.5, v3
	v_mov_b32_e32 v105, v107
	v_fmac_f32_e32 v105, 0xbf737871, v1
	v_fmac_f32_e32 v107, 0x3f737871, v1
	;; [unrolled: 1-line block ×4, first 2 shown]
	v_add_f32_e32 v0, v100, v50
	v_add_f32_e32 v0, v0, v52
	;; [unrolled: 1-line block ×3, first 2 shown]
	v_sub_f32_e32 v3, v10, v14
	v_add_f32_e32 v14, v0, v17
	v_add_f32_e32 v0, v52, v21
	v_sub_f32_e32 v2, v6, v2
	v_fma_f32 v0, -0.5, v0, v100
	v_add_f32_e32 v2, v2, v3
	v_sub_f32_e32 v1, v51, v25
	v_mov_b32_e32 v16, v0
	v_fmac_f32_e32 v105, 0x3e9e377a, v2
	v_fmac_f32_e32 v107, 0x3e9e377a, v2
	;; [unrolled: 1-line block ×3, first 2 shown]
	v_sub_f32_e32 v3, v20, v24
	v_sub_f32_e32 v2, v50, v52
	;; [unrolled: 1-line block ×3, first 2 shown]
	v_fmac_f32_e32 v0, 0x3f737871, v1
	v_fmac_f32_e32 v16, 0xbf167918, v3
	v_add_f32_e32 v2, v2, v4
	v_fmac_f32_e32 v0, 0x3f167918, v3
	v_fmac_f32_e32 v16, 0x3e9e377a, v2
	;; [unrolled: 1-line block ×3, first 2 shown]
	v_add_f32_e32 v2, v50, v17
	v_fma_f32 v2, -0.5, v2, v100
	v_mov_b32_e32 v4, v2
	v_fmac_f32_e32 v4, 0x3f737871, v3
	v_fmac_f32_e32 v2, 0xbf737871, v3
	;; [unrolled: 1-line block ×4, first 2 shown]
	v_add_f32_e32 v1, v101, v51
	v_add_f32_e32 v1, v1, v20
	;; [unrolled: 1-line block ×5, first 2 shown]
	v_sub_f32_e32 v5, v52, v50
	v_sub_f32_e32 v6, v21, v17
	v_fma_f32 v1, -0.5, v1, v101
	v_add_f32_e32 v5, v5, v6
	v_sub_f32_e32 v6, v50, v17
	v_mov_b32_e32 v17, v1
	v_fmac_f32_e32 v4, 0x3e9e377a, v5
	v_fmac_f32_e32 v2, 0x3e9e377a, v5
	v_fmac_f32_e32 v17, 0x3f737871, v6
	v_sub_f32_e32 v7, v52, v21
	v_sub_f32_e32 v3, v51, v20
	;; [unrolled: 1-line block ×3, first 2 shown]
	v_fmac_f32_e32 v1, 0xbf737871, v6
	v_fmac_f32_e32 v17, 0x3f167918, v7
	v_add_f32_e32 v3, v3, v5
	v_fmac_f32_e32 v1, 0xbf167918, v7
	v_fmac_f32_e32 v17, 0x3e9e377a, v3
	;; [unrolled: 1-line block ×3, first 2 shown]
	v_add_f32_e32 v3, v51, v25
	v_fma_f32 v3, -0.5, v3, v101
	v_mov_b32_e32 v5, v3
	v_fmac_f32_e32 v5, 0xbf737871, v7
	v_fmac_f32_e32 v3, 0x3f737871, v7
	;; [unrolled: 1-line block ×4, first 2 shown]
	v_add_f32_e32 v6, v102, v28
	v_sub_f32_e32 v8, v20, v51
	v_sub_f32_e32 v9, v24, v25
	v_add_f32_e32 v6, v6, v19
	v_add_f32_e32 v8, v8, v9
	;; [unrolled: 1-line block ×3, first 2 shown]
	v_fmac_f32_e32 v5, 0x3e9e377a, v8
	v_fmac_f32_e32 v3, 0x3e9e377a, v8
	v_add_f32_e32 v8, v6, v27
	v_add_f32_e32 v6, v19, v23
	v_fma_f32 v6, -0.5, v6, v102
	v_sub_f32_e32 v7, v18, v29
	v_mov_b32_e32 v10, v6
	v_fmac_f32_e32 v10, 0xbf737871, v7
	v_sub_f32_e32 v9, v22, v26
	v_sub_f32_e32 v11, v28, v19
	;; [unrolled: 1-line block ×3, first 2 shown]
	v_fmac_f32_e32 v6, 0x3f737871, v7
	v_fmac_f32_e32 v10, 0xbf167918, v9
	v_add_f32_e32 v11, v11, v12
	v_fmac_f32_e32 v6, 0x3f167918, v9
	v_fmac_f32_e32 v10, 0x3e9e377a, v11
	;; [unrolled: 1-line block ×3, first 2 shown]
	v_add_f32_e32 v11, v28, v27
	v_fma_f32 v102, -0.5, v11, v102
	v_mov_b32_e32 v12, v102
	v_fmac_f32_e32 v12, 0x3f737871, v9
	v_fmac_f32_e32 v102, 0xbf737871, v9
	;; [unrolled: 1-line block ×4, first 2 shown]
	v_add_f32_e32 v7, v103, v18
	v_add_f32_e32 v7, v7, v22
	;; [unrolled: 1-line block ×3, first 2 shown]
	v_sub_f32_e32 v11, v19, v28
	v_sub_f32_e32 v13, v23, v27
	v_add_f32_e32 v9, v7, v29
	v_add_f32_e32 v7, v22, v26
	;; [unrolled: 1-line block ×3, first 2 shown]
	v_fma_f32 v7, -0.5, v7, v103
	v_fmac_f32_e32 v12, 0x3e9e377a, v11
	v_fmac_f32_e32 v102, 0x3e9e377a, v11
	v_sub_f32_e32 v20, v28, v27
	v_mov_b32_e32 v11, v7
	v_fmac_f32_e32 v11, 0x3f737871, v20
	v_sub_f32_e32 v19, v19, v23
	v_sub_f32_e32 v13, v18, v22
	;; [unrolled: 1-line block ×3, first 2 shown]
	v_fmac_f32_e32 v7, 0xbf737871, v20
	v_fmac_f32_e32 v11, 0x3f167918, v19
	v_add_f32_e32 v13, v13, v21
	v_fmac_f32_e32 v7, 0xbf167918, v19
	v_fmac_f32_e32 v11, 0x3e9e377a, v13
	;; [unrolled: 1-line block ×3, first 2 shown]
	v_add_f32_e32 v13, v18, v29
	v_fmac_f32_e32 v103, -0.5, v13
	v_mov_b32_e32 v13, v103
	v_fmac_f32_e32 v13, 0xbf737871, v19
	v_sub_f32_e32 v18, v22, v18
	v_sub_f32_e32 v21, v26, v29
	v_fmac_f32_e32 v103, 0x3f737871, v19
	v_fmac_f32_e32 v13, 0x3f167918, v20
	v_add_f32_e32 v18, v18, v21
	v_fmac_f32_e32 v103, 0xbf167918, v20
	v_fmac_f32_e32 v13, 0x3e9e377a, v18
	;; [unrolled: 1-line block ×3, first 2 shown]
	v_add_f32_e32 v18, v96, v30
	v_add_f32_e32 v18, v18, v32
	;; [unrolled: 1-line block ×5, first 2 shown]
	v_fma_f32 v18, -0.5, v18, v96
	v_sub_f32_e32 v19, v31, v72
	v_mov_b32_e32 v22, v18
	v_fmac_f32_e32 v22, 0xbf737871, v19
	v_sub_f32_e32 v21, v33, v54
	v_sub_f32_e32 v23, v30, v32
	;; [unrolled: 1-line block ×3, first 2 shown]
	v_fmac_f32_e32 v18, 0x3f737871, v19
	v_fmac_f32_e32 v22, 0xbf167918, v21
	v_add_f32_e32 v23, v23, v24
	v_fmac_f32_e32 v18, 0x3f167918, v21
	v_fmac_f32_e32 v22, 0x3e9e377a, v23
	;; [unrolled: 1-line block ×3, first 2 shown]
	v_add_f32_e32 v23, v30, v55
	v_fma_f32 v24, -0.5, v23, v96
	v_mov_b32_e32 v26, v24
	v_fmac_f32_e32 v26, 0x3f737871, v21
	v_fmac_f32_e32 v24, 0xbf737871, v21
	;; [unrolled: 1-line block ×4, first 2 shown]
	v_add_f32_e32 v19, v97, v31
	v_add_f32_e32 v19, v19, v33
	v_add_f32_e32 v19, v19, v54
	v_sub_f32_e32 v23, v32, v30
	v_sub_f32_e32 v25, v53, v55
	v_add_f32_e32 v21, v19, v72
	v_add_f32_e32 v19, v33, v54
	;; [unrolled: 1-line block ×3, first 2 shown]
	v_fma_f32 v19, -0.5, v19, v97
	v_fmac_f32_e32 v26, 0x3e9e377a, v23
	v_fmac_f32_e32 v24, 0x3e9e377a, v23
	v_sub_f32_e32 v28, v30, v55
	v_mov_b32_e32 v23, v19
	v_fmac_f32_e32 v23, 0x3f737871, v28
	v_sub_f32_e32 v29, v32, v53
	v_sub_f32_e32 v25, v31, v33
	;; [unrolled: 1-line block ×3, first 2 shown]
	v_fmac_f32_e32 v19, 0xbf737871, v28
	v_fmac_f32_e32 v23, 0x3f167918, v29
	v_add_f32_e32 v25, v25, v27
	v_fmac_f32_e32 v19, 0xbf167918, v29
	v_fmac_f32_e32 v23, 0x3e9e377a, v25
	;; [unrolled: 1-line block ×3, first 2 shown]
	v_add_f32_e32 v25, v31, v72
	v_fma_f32 v25, -0.5, v25, v97
	v_mov_b32_e32 v27, v25
	v_fmac_f32_e32 v27, 0xbf737871, v29
	v_fmac_f32_e32 v25, 0x3f737871, v29
	v_fmac_f32_e32 v27, 0x3f167918, v28
	v_fmac_f32_e32 v25, 0xbf167918, v28
	v_add_f32_e32 v28, v98, v73
	v_sub_f32_e32 v30, v33, v31
	v_sub_f32_e32 v31, v54, v72
	v_add_f32_e32 v28, v28, v35
	v_add_f32_e32 v30, v30, v31
	;; [unrolled: 1-line block ×3, first 2 shown]
	v_fmac_f32_e32 v27, 0x3e9e377a, v30
	v_fmac_f32_e32 v25, 0x3e9e377a, v30
	v_add_f32_e32 v30, v28, v117
	v_add_f32_e32 v28, v35, v115
	v_fma_f32 v28, -0.5, v28, v98
	v_sub_f32_e32 v29, v75, v48
	v_mov_b32_e32 v32, v28
	v_fmac_f32_e32 v42, 0x3e9e377a, v34
	v_fmac_f32_e32 v40, 0x3e9e377a, v34
	;; [unrolled: 1-line block ×3, first 2 shown]
	v_sub_f32_e32 v31, v114, v116
	v_sub_f32_e32 v33, v73, v35
	;; [unrolled: 1-line block ×3, first 2 shown]
	v_fmac_f32_e32 v28, 0x3f737871, v29
	v_fmac_f32_e32 v32, 0xbf167918, v31
	v_add_f32_e32 v33, v33, v34
	v_fmac_f32_e32 v28, 0x3f167918, v31
	v_fmac_f32_e32 v32, 0x3e9e377a, v33
	;; [unrolled: 1-line block ×3, first 2 shown]
	v_add_f32_e32 v33, v73, v117
	v_fma_f32 v98, -0.5, v33, v98
	v_mov_b32_e32 v34, v98
	v_fmac_f32_e32 v34, 0x3f737871, v31
	v_fmac_f32_e32 v98, 0xbf737871, v31
	;; [unrolled: 1-line block ×4, first 2 shown]
	v_add_f32_e32 v29, v99, v75
	v_add_f32_e32 v29, v29, v114
	;; [unrolled: 1-line block ×3, first 2 shown]
	v_sub_f32_e32 v33, v35, v73
	v_sub_f32_e32 v44, v115, v117
	v_add_f32_e32 v31, v29, v48
	v_add_f32_e32 v29, v114, v116
	;; [unrolled: 1-line block ×3, first 2 shown]
	v_fma_f32 v29, -0.5, v29, v99
	v_fmac_f32_e32 v34, 0x3e9e377a, v33
	v_fmac_f32_e32 v98, 0x3e9e377a, v33
	v_sub_f32_e32 v44, v73, v117
	v_mov_b32_e32 v33, v29
	v_fmac_f32_e32 v33, 0x3f737871, v44
	v_sub_f32_e32 v49, v35, v115
	v_sub_f32_e32 v35, v75, v114
	;; [unrolled: 1-line block ×3, first 2 shown]
	v_fmac_f32_e32 v29, 0xbf737871, v44
	v_fmac_f32_e32 v33, 0x3f167918, v49
	v_add_f32_e32 v35, v35, v50
	v_fmac_f32_e32 v29, 0xbf167918, v49
	v_fmac_f32_e32 v33, 0x3e9e377a, v35
	;; [unrolled: 1-line block ×3, first 2 shown]
	v_add_f32_e32 v35, v75, v48
	v_fmac_f32_e32 v99, -0.5, v35
	v_mov_b32_e32 v35, v99
	v_fmac_f32_e32 v35, 0xbf737871, v49
	v_fmac_f32_e32 v99, 0x3f737871, v49
	;; [unrolled: 1-line block ×4, first 2 shown]
	buffer_load_dword v44, off, s[24:27], 0 offset:340 ; 4-byte Folded Reload
	s_waitcnt vmcnt(0)
	ds_write2_b64 v44, v[112:113], v[46:47] offset1:15
	ds_write2_b64 v44, v[42:43], v[40:41] offset0:30 offset1:45
	ds_write_b64 v44, v[38:39] offset:480
	buffer_load_dword v38, off, s[24:27], 0 offset:364 ; 4-byte Folded Reload
	s_waitcnt vmcnt(0)
	ds_write2_b64 v38, v[108:109], v[110:111] offset1:15
	ds_write2_b64 v38, v[104:105], v[106:107] offset0:30 offset1:45
	ds_write_b64 v38, v[36:37] offset:480
	;; [unrolled: 5-line block ×5, first 2 shown]
	buffer_load_dword v0, off, s[24:27], 0 offset:352 ; 4-byte Folded Reload
	v_sub_f32_e32 v50, v114, v75
	v_sub_f32_e32 v48, v116, v48
	v_add_f32_e32 v48, v50, v48
	v_fmac_f32_e32 v35, 0x3e9e377a, v48
	v_fmac_f32_e32 v99, 0x3e9e377a, v48
	s_waitcnt vmcnt(0)
	ds_write2_b64 v0, v[30:31], v[32:33] offset1:15
	ds_write2_b64 v0, v[34:35], v[98:99] offset0:30 offset1:45
	ds_write_b64 v0, v[28:29] offset:480
	s_waitcnt lgkmcnt(0)
	s_barrier
	ds_read2_b64 v[4:7], v74 offset1:125
	ds_read2_b64 v[0:3], v57 offset0:122 offset1:247
	ds_read2_b64 v[8:11], v59 offset0:110 offset1:235
	;; [unrolled: 1-line block ×5, first 2 shown]
	s_waitcnt lgkmcnt(4)
	v_mul_f32_e32 v44, v62, v3
	v_fmac_f32_e32 v44, v61, v2
	v_mul_f32_e32 v2, v62, v2
	v_fma_f32 v54, v61, v3, -v2
	s_waitcnt lgkmcnt(3)
	v_mul_f32_e32 v55, v64, v9
	v_mul_f32_e32 v2, v64, v8
	ds_read2_b64 v[28:31], v58 offset0:74 offset1:199
	ds_read2_b64 v[32:35], v71 offset0:68 offset1:193
	;; [unrolled: 1-line block ×9, first 2 shown]
	v_fmac_f32_e32 v55, v63, v8
	v_fma_f32 v64, v63, v9, -v2
	buffer_load_dword v8, off, s[24:27], 0 offset:356 ; 4-byte Folded Reload
	buffer_load_dword v9, off, s[24:27], 0 offset:360 ; 4-byte Folded Reload
	s_waitcnt lgkmcnt(11)
	v_mul_f32_e32 v2, v221, v18
	v_mov_b32_e32 v113, v66
	v_mov_b32_e32 v112, v65
	v_mul_f32_e32 v65, v221, v19
	v_fma_f32 v19, v220, v19, -v2
	s_waitcnt lgkmcnt(10)
	v_mul_f32_e32 v66, v223, v21
	v_mul_f32_e32 v2, v223, v20
	v_fmac_f32_e32 v66, v222, v20
	v_fma_f32 v20, v222, v21, -v2
	s_waitcnt lgkmcnt(9)
	v_mul_f32_e32 v21, v225, v27
	v_mul_f32_e32 v2, v225, v26
	v_fmac_f32_e32 v21, v224, v26
	;; [unrolled: 5-line block ×5, first 2 shown]
	v_fma_f32 v36, v232, v37, -v2
	s_waitcnt lgkmcnt(4)
	v_mul_f32_e32 v13, v77, v47
	v_fmac_f32_e32 v13, v76, v46
	v_mov_b32_e32 v108, v228
	v_mov_b32_e32 v228, v58
	;; [unrolled: 1-line block ×3, first 2 shown]
	v_mul_f32_e32 v61, v219, v39
	v_fmac_f32_e32 v61, v218, v38
	v_mul_f32_e32 v14, v83, v40
	v_fmac_f32_e32 v65, v220, v18
	v_mul_f32_e32 v63, v95, v17
	v_fma_f32 v75, v82, v41, -v14
	v_mov_b32_e32 v110, v59
	v_mul_f32_e32 v59, v215, v31
	v_fmac_f32_e32 v59, v214, v30
	v_mul_f32_e32 v71, v87, v33
	v_fmac_f32_e32 v71, v86, v32
	;; [unrolled: 2-line block ×3, first 2 shown]
	v_mul_f32_e32 v3, v93, v48
	v_fma_f32 v3, v92, v49, -v3
	s_waitcnt lgkmcnt(2)
	v_mul_f32_e32 v57, v213, v97
	v_fmac_f32_e32 v57, v212, v96
	v_fmac_f32_e32 v63, v94, v16
	v_mul_f32_e32 v12, v85, v99
	v_fmac_f32_e32 v12, v84, v98
	s_waitcnt vmcnt(0)
	v_mul_f32_e32 v37, v9, v43
	v_mul_f32_e32 v2, v9, v42
	v_fmac_f32_e32 v37, v8, v42
	v_fma_f32 v42, v8, v43, -v2
	v_mul_f32_e32 v2, v77, v46
	v_fma_f32 v15, v76, v47, -v2
	v_mul_f32_e32 v2, v79, v10
	;; [unrolled: 2-line block ×3, first 2 shown]
	v_mul_f32_e32 v2, v68, v50
	buffer_load_dword v8, off, s[24:27], 0 offset:372 ; 4-byte Folded Reload
	buffer_load_dword v9, off, s[24:27], 0 offset:376 ; 4-byte Folded Reload
	v_fmac_f32_e32 v47, v67, v50
	v_fma_f32 v50, v67, v51, -v2
	v_mul_f32_e32 v51, v70, v23
	v_mul_f32_e32 v2, v70, v22
	v_fmac_f32_e32 v51, v69, v22
	v_fma_f32 v56, v69, v23, -v2
	buffer_load_dword v22, off, s[24:27], 0 offset:384 ; 4-byte Folded Reload
	buffer_load_dword v23, off, s[24:27], 0 offset:388 ; 4-byte Folded Reload
	v_mul_f32_e32 v2, v213, v96
	v_fma_f32 v58, v212, v97, -v2
	v_mul_f32_e32 v2, v215, v30
	v_fma_f32 v67, v214, v31, -v2
	s_waitcnt lgkmcnt(1)
	v_mul_f32_e32 v2, v217, v100
	v_fma_f32 v60, v216, v101, -v2
	v_mul_f32_e32 v2, v219, v38
	v_fma_f32 v38, v218, v39, -v2
	v_mul_f32_e32 v43, v79, v11
	v_fmac_f32_e32 v43, v78, v10
	v_mul_f32_e32 v10, v87, v32
	v_mul_f32_e32 v69, v91, v25
	v_fmac_f32_e32 v69, v90, v24
	v_fma_f32 v72, v86, v33, -v10
	v_mul_f32_e32 v11, v89, v53
	v_fmac_f32_e32 v11, v88, v52
	v_mul_f32_e32 v68, v217, v101
	v_fmac_f32_e32 v68, v216, v100
	v_mul_f32_e32 v10, v81, v102
	v_fma_f32 v10, v80, v103, -v10
	s_waitcnt vmcnt(0) lgkmcnt(0)
	s_barrier
	v_mul_f32_e32 v39, v9, v105
	v_mul_f32_e32 v2, v9, v104
	v_fmac_f32_e32 v39, v8, v104
	v_fma_f32 v62, v8, v105, -v2
	v_mul_f32_e32 v8, v95, v16
	v_fma_f32 v18, v94, v17, -v8
	v_mul_f32_e32 v9, v91, v24
	v_mul_f32_e32 v17, v23, v107
	;; [unrolled: 1-line block ×3, first 2 shown]
	v_fmac_f32_e32 v17, v22, v106
	v_fma_f32 v14, v22, v107, -v14
	v_add_f32_e32 v22, v4, v55
	v_add_f32_e32 v22, v22, v66
	;; [unrolled: 1-line block ×5, first 2 shown]
	v_fma_f32 v32, -0.5, v22, v4
	v_sub_f32_e32 v22, v64, v36
	v_mov_b32_e32 v31, v32
	v_fma_f32 v70, v90, v25, -v9
	v_fmac_f32_e32 v31, 0xbf737871, v22
	v_sub_f32_e32 v23, v20, v28
	v_sub_f32_e32 v24, v55, v66
	;; [unrolled: 1-line block ×3, first 2 shown]
	v_fmac_f32_e32 v32, 0x3f737871, v22
	v_fmac_f32_e32 v31, 0xbf167918, v23
	v_add_f32_e32 v24, v24, v25
	v_fmac_f32_e32 v32, 0x3f167918, v23
	v_fmac_f32_e32 v31, 0x3e9e377a, v24
	;; [unrolled: 1-line block ×3, first 2 shown]
	v_add_f32_e32 v24, v55, v35
	v_fma_f32 v33, -0.5, v24, v4
	v_mov_b32_e32 v40, v33
	v_fmac_f32_e32 v40, 0x3f737871, v23
	v_sub_f32_e32 v4, v66, v55
	v_sub_f32_e32 v24, v27, v35
	v_fmac_f32_e32 v33, 0xbf737871, v23
	v_fmac_f32_e32 v40, 0xbf167918, v22
	v_add_f32_e32 v4, v4, v24
	v_fmac_f32_e32 v33, 0x3f167918, v22
	v_fmac_f32_e32 v40, 0x3e9e377a, v4
	;; [unrolled: 1-line block ×3, first 2 shown]
	v_add_f32_e32 v4, v5, v64
	v_add_f32_e32 v4, v4, v20
	;; [unrolled: 1-line block ×3, first 2 shown]
	v_mul_f32_e32 v2, v93, v49
	v_add_f32_e32 v41, v4, v36
	v_add_f32_e32 v4, v20, v28
	v_fmac_f32_e32 v2, v92, v48
	v_fma_f32 v48, -0.5, v4, v5
	v_sub_f32_e32 v4, v55, v35
	v_mov_b32_e32 v49, v48
	v_fmac_f32_e32 v49, 0x3f737871, v4
	v_sub_f32_e32 v22, v66, v27
	v_sub_f32_e32 v23, v64, v20
	;; [unrolled: 1-line block ×3, first 2 shown]
	v_fmac_f32_e32 v48, 0xbf737871, v4
	v_fmac_f32_e32 v49, 0x3f167918, v22
	v_add_f32_e32 v23, v23, v24
	v_fmac_f32_e32 v48, 0xbf167918, v22
	v_fmac_f32_e32 v49, 0x3e9e377a, v23
	;; [unrolled: 1-line block ×3, first 2 shown]
	v_add_f32_e32 v23, v64, v36
	v_mul_f32_e32 v8, v89, v52
	v_fma_f32 v52, -0.5, v23, v5
	v_fma_f32 v8, v88, v53, -v8
	v_mov_b32_e32 v53, v52
	v_fmac_f32_e32 v53, 0xbf737871, v22
	v_fmac_f32_e32 v52, 0x3f737871, v22
	;; [unrolled: 1-line block ×4, first 2 shown]
	v_add_f32_e32 v4, v44, v65
	v_add_f32_e32 v4, v4, v21
	;; [unrolled: 1-line block ×5, first 2 shown]
	v_sub_f32_e32 v5, v20, v64
	v_sub_f32_e32 v20, v28, v36
	v_fma_f32 v28, -0.5, v4, v44
	v_add_f32_e32 v5, v5, v20
	v_sub_f32_e32 v4, v19, v42
	v_mov_b32_e32 v20, v28
	v_fmac_f32_e32 v53, 0x3e9e377a, v5
	v_fmac_f32_e32 v52, 0x3e9e377a, v5
	;; [unrolled: 1-line block ×3, first 2 shown]
	v_sub_f32_e32 v5, v26, v34
	v_sub_f32_e32 v22, v65, v21
	;; [unrolled: 1-line block ×3, first 2 shown]
	v_fmac_f32_e32 v28, 0x3f737871, v4
	v_fmac_f32_e32 v20, 0xbf167918, v5
	v_add_f32_e32 v22, v22, v23
	v_fmac_f32_e32 v28, 0x3f167918, v5
	v_fmac_f32_e32 v20, 0x3e9e377a, v22
	;; [unrolled: 1-line block ×3, first 2 shown]
	v_add_f32_e32 v22, v65, v37
	v_fmac_f32_e32 v44, -0.5, v22
	v_mov_b32_e32 v22, v44
	v_fmac_f32_e32 v22, 0x3f737871, v5
	v_fmac_f32_e32 v44, 0xbf737871, v5
	;; [unrolled: 1-line block ×4, first 2 shown]
	v_add_f32_e32 v4, v54, v19
	v_add_f32_e32 v4, v4, v26
	;; [unrolled: 1-line block ×5, first 2 shown]
	v_sub_f32_e32 v23, v21, v65
	v_sub_f32_e32 v24, v29, v37
	v_fma_f32 v35, -0.5, v4, v54
	v_add_f32_e32 v23, v23, v24
	v_sub_f32_e32 v4, v65, v37
	v_mov_b32_e32 v24, v35
	v_fmac_f32_e32 v22, 0x3e9e377a, v23
	v_fmac_f32_e32 v44, 0x3e9e377a, v23
	v_fmac_f32_e32 v24, 0x3f737871, v4
	v_sub_f32_e32 v5, v21, v29
	v_sub_f32_e32 v21, v19, v26
	;; [unrolled: 1-line block ×3, first 2 shown]
	v_fmac_f32_e32 v35, 0xbf737871, v4
	v_fmac_f32_e32 v24, 0x3f167918, v5
	v_add_f32_e32 v21, v21, v23
	v_fmac_f32_e32 v35, 0xbf167918, v5
	v_fmac_f32_e32 v24, 0x3e9e377a, v21
	;; [unrolled: 1-line block ×3, first 2 shown]
	v_add_f32_e32 v21, v19, v42
	v_fmac_f32_e32 v54, -0.5, v21
	v_mov_b32_e32 v29, v54
	v_fmac_f32_e32 v29, 0xbf737871, v5
	v_sub_f32_e32 v19, v26, v19
	v_sub_f32_e32 v21, v34, v42
	v_fmac_f32_e32 v29, 0x3f167918, v4
	v_add_f32_e32 v19, v19, v21
	v_fmac_f32_e32 v29, 0x3e9e377a, v19
	v_fmac_f32_e32 v54, 0x3f737871, v5
	;; [unrolled: 1-line block ×3, first 2 shown]
	v_mul_f32_e32 v34, 0xbf167918, v24
	v_mul_f32_e32 v37, 0xbf737871, v29
	v_fmac_f32_e32 v54, 0x3e9e377a, v19
	v_fmac_f32_e32 v34, 0x3f4f1bbd, v20
	v_fmac_f32_e32 v37, 0x3e9e377a, v22
	v_add_f32_e32 v19, v31, v34
	v_add_f32_e32 v21, v40, v37
	v_mul_f32_e32 v42, 0xbf737871, v54
	v_mul_f32_e32 v65, 0x3e9e377a, v29
	;; [unrolled: 1-line block ×3, first 2 shown]
	v_sub_f32_e32 v29, v31, v34
	v_sub_f32_e32 v31, v40, v37
	v_add_f32_e32 v37, v6, v43
	v_fmac_f32_e32 v42, 0xbe9e377a, v44
	v_fmac_f32_e32 v54, 0x3f737871, v44
	v_mul_f32_e32 v44, 0xbf4f1bbd, v35
	v_add_f32_e32 v37, v37, v51
	v_mul_f32_e32 v55, 0xbf167918, v35
	v_mul_f32_e32 v64, 0x3f4f1bbd, v24
	v_fmac_f32_e32 v44, 0x3f167918, v28
	v_add_f32_e32 v37, v37, v59
	v_fmac_f32_e32 v55, 0xbf4f1bbd, v28
	v_add_f32_e32 v5, v41, v36
	;; [unrolled: 2-line block ×3, first 2 shown]
	v_sub_f32_e32 v28, v41, v36
	v_sub_f32_e32 v36, v48, v44
	v_add_f32_e32 v48, v37, v61
	v_add_f32_e32 v37, v51, v59
	;; [unrolled: 1-line block ×4, first 2 shown]
	v_sub_f32_e32 v27, v30, v27
	v_sub_f32_e32 v30, v49, v64
	v_fma_f32 v49, -0.5, v37, v6
	v_add_f32_e32 v24, v52, v54
	v_sub_f32_e32 v34, v52, v54
	v_sub_f32_e32 v37, v46, v38
	v_mov_b32_e32 v52, v49
	v_add_f32_e32 v23, v33, v42
	v_sub_f32_e32 v33, v33, v42
	v_fmac_f32_e32 v52, 0xbf737871, v37
	v_sub_f32_e32 v40, v56, v67
	v_sub_f32_e32 v41, v43, v51
	;; [unrolled: 1-line block ×3, first 2 shown]
	v_fmac_f32_e32 v49, 0x3f737871, v37
	v_fmac_f32_e32 v52, 0xbf167918, v40
	v_add_f32_e32 v41, v41, v42
	v_fmac_f32_e32 v49, 0x3f167918, v40
	v_fmac_f32_e32 v52, 0x3e9e377a, v41
	;; [unrolled: 1-line block ×3, first 2 shown]
	v_add_f32_e32 v41, v43, v61
	v_fmac_f32_e32 v65, 0x3f737871, v22
	v_fma_f32 v6, -0.5, v41, v6
	v_add_f32_e32 v25, v32, v55
	v_add_f32_e32 v22, v53, v65
	v_sub_f32_e32 v35, v32, v55
	v_sub_f32_e32 v32, v53, v65
	v_mov_b32_e32 v53, v6
	v_fmac_f32_e32 v53, 0x3f737871, v40
	v_fmac_f32_e32 v6, 0xbf737871, v40
	v_fmac_f32_e32 v53, 0xbf167918, v37
	v_fmac_f32_e32 v6, 0x3f167918, v37
	v_add_f32_e32 v37, v7, v46
	v_add_f32_e32 v37, v37, v56
	v_add_f32_e32 v37, v37, v67
	v_add_f32_e32 v55, v37, v38
	v_add_f32_e32 v37, v56, v67
	v_sub_f32_e32 v41, v51, v43
	v_sub_f32_e32 v42, v59, v61
	v_fma_f32 v64, -0.5, v37, v7
	v_add_f32_e32 v41, v41, v42
	v_sub_f32_e32 v37, v43, v61
	v_mov_b32_e32 v61, v64
	v_fmac_f32_e32 v53, 0x3e9e377a, v41
	v_fmac_f32_e32 v6, 0x3e9e377a, v41
	v_fmac_f32_e32 v61, 0x3f737871, v37
	v_sub_f32_e32 v40, v51, v59
	v_sub_f32_e32 v41, v46, v56
	v_sub_f32_e32 v42, v38, v67
	v_fmac_f32_e32 v64, 0xbf737871, v37
	v_fmac_f32_e32 v61, 0x3f167918, v40
	v_add_f32_e32 v41, v41, v42
	v_fmac_f32_e32 v64, 0xbf167918, v40
	v_fmac_f32_e32 v61, 0x3e9e377a, v41
	v_fmac_f32_e32 v64, 0x3e9e377a, v41
	v_add_f32_e32 v41, v46, v38
	v_fmac_f32_e32 v7, -0.5, v41
	v_mov_b32_e32 v59, v7
	v_fmac_f32_e32 v59, 0xbf737871, v40
	v_fmac_f32_e32 v7, 0x3f737871, v40
	v_fmac_f32_e32 v59, 0x3f167918, v37
	v_fmac_f32_e32 v7, 0xbf167918, v37
	v_add_f32_e32 v37, v13, v47
	v_add_f32_e32 v37, v37, v57
	v_add_f32_e32 v37, v37, v68
	v_add_f32_e32 v51, v37, v39
	v_add_f32_e32 v37, v57, v68
	v_sub_f32_e32 v41, v56, v46
	v_sub_f32_e32 v38, v67, v38
	v_fma_f32 v54, -0.5, v37, v13
	v_add_f32_e32 v38, v41, v38
	v_sub_f32_e32 v37, v50, v62
	v_mov_b32_e32 v40, v54
	v_fmac_f32_e32 v59, 0x3e9e377a, v38
	v_fmac_f32_e32 v7, 0x3e9e377a, v38
	v_fmac_f32_e32 v40, 0xbf737871, v37
	v_sub_f32_e32 v38, v58, v60
	v_sub_f32_e32 v41, v47, v57
	v_sub_f32_e32 v42, v39, v68
	v_fmac_f32_e32 v54, 0x3f737871, v37
	v_fmac_f32_e32 v40, 0xbf167918, v38
	v_add_f32_e32 v41, v41, v42
	v_fmac_f32_e32 v54, 0x3f167918, v38
	v_fmac_f32_e32 v40, 0x3e9e377a, v41
	v_fmac_f32_e32 v54, 0x3e9e377a, v41
	v_add_f32_e32 v41, v47, v39
	v_fmac_f32_e32 v13, -0.5, v41
	;; [unrolled: 30-line block ×3, first 2 shown]
	v_mov_b32_e32 v47, v15
	v_sub_f32_e32 v39, v58, v50
	v_sub_f32_e32 v41, v60, v62
	v_fmac_f32_e32 v15, 0x3f737871, v38
	v_add_f32_e32 v39, v39, v41
	v_fmac_f32_e32 v15, 0xbf167918, v37
	v_fmac_f32_e32 v15, 0x3e9e377a, v39
	;; [unrolled: 1-line block ×3, first 2 shown]
	v_mul_f32_e32 v58, 0xbf737871, v15
	v_mul_f32_e32 v15, 0xbe9e377a, v15
	v_fmac_f32_e32 v47, 0x3f167918, v37
	v_fmac_f32_e32 v58, 0xbe9e377a, v13
	v_mul_f32_e32 v60, 0xbf167918, v65
	v_fmac_f32_e32 v15, 0x3f737871, v13
	v_mul_f32_e32 v13, 0xbf4f1bbd, v65
	v_fmac_f32_e32 v47, 0x3e9e377a, v39
	v_fmac_f32_e32 v60, 0xbf4f1bbd, v54
	;; [unrolled: 1-line block ×3, first 2 shown]
	v_mul_f32_e32 v57, 0xbf737871, v47
	v_add_f32_e32 v46, v49, v60
	v_add_f32_e32 v38, v55, v56
	v_mul_f32_e32 v66, 0x3e9e377a, v47
	v_add_f32_e32 v47, v64, v13
	v_sub_f32_e32 v54, v49, v60
	v_sub_f32_e32 v49, v55, v56
	;; [unrolled: 1-line block ×3, first 2 shown]
	v_add_f32_e32 v13, v0, v63
	v_add_f32_e32 v13, v13, v69
	v_mul_f32_e32 v50, 0xbf167918, v44
	v_add_f32_e32 v13, v13, v71
	v_fmac_f32_e32 v50, 0x3f4f1bbd, v40
	v_fmac_f32_e32 v57, 0x3e9e377a, v42
	v_add_f32_e32 v56, v13, v73
	v_add_f32_e32 v13, v69, v71
	;; [unrolled: 1-line block ×4, first 2 shown]
	v_sub_f32_e32 v50, v52, v50
	v_sub_f32_e32 v52, v53, v57
	v_fma_f32 v57, -0.5, v13, v0
	v_add_f32_e32 v43, v6, v58
	v_fmac_f32_e32 v66, 0x3f737871, v42
	v_sub_f32_e32 v6, v6, v58
	v_sub_f32_e32 v13, v18, v75
	v_mov_b32_e32 v58, v57
	v_mul_f32_e32 v62, 0x3f4f1bbd, v44
	v_add_f32_e32 v42, v59, v66
	v_add_f32_e32 v44, v7, v15
	v_sub_f32_e32 v53, v59, v66
	v_sub_f32_e32 v7, v7, v15
	v_fmac_f32_e32 v58, 0xbf737871, v13
	v_sub_f32_e32 v15, v70, v72
	v_sub_f32_e32 v59, v63, v69
	;; [unrolled: 1-line block ×3, first 2 shown]
	v_fmac_f32_e32 v57, 0x3f737871, v13
	v_fmac_f32_e32 v58, 0xbf167918, v15
	v_add_f32_e32 v59, v59, v60
	v_fmac_f32_e32 v57, 0x3f167918, v15
	v_fmac_f32_e32 v58, 0x3e9e377a, v59
	;; [unrolled: 1-line block ×3, first 2 shown]
	v_add_f32_e32 v59, v63, v73
	v_fma_f32 v0, -0.5, v59, v0
	v_mov_b32_e32 v59, v0
	v_fmac_f32_e32 v59, 0x3f737871, v15
	v_fmac_f32_e32 v0, 0xbf737871, v15
	;; [unrolled: 1-line block ×4, first 2 shown]
	v_add_f32_e32 v13, v1, v18
	v_fmac_f32_e32 v62, 0x3f167918, v40
	v_add_f32_e32 v13, v13, v70
	v_add_f32_e32 v37, v48, v51
	;; [unrolled: 1-line block ×3, first 2 shown]
	v_sub_f32_e32 v48, v48, v51
	v_sub_f32_e32 v51, v61, v62
	;; [unrolled: 1-line block ×4, first 2 shown]
	v_add_f32_e32 v13, v13, v72
	v_add_f32_e32 v60, v60, v61
	;; [unrolled: 1-line block ×4, first 2 shown]
	v_fma_f32 v62, -0.5, v13, v1
	v_sub_f32_e32 v13, v63, v73
	v_mov_b32_e32 v63, v62
	v_fmac_f32_e32 v59, 0x3e9e377a, v60
	v_fmac_f32_e32 v0, 0x3e9e377a, v60
	;; [unrolled: 1-line block ×3, first 2 shown]
	v_sub_f32_e32 v15, v69, v71
	v_sub_f32_e32 v60, v18, v70
	;; [unrolled: 1-line block ×3, first 2 shown]
	v_fmac_f32_e32 v62, 0xbf737871, v13
	v_fmac_f32_e32 v63, 0x3f167918, v15
	v_add_f32_e32 v60, v60, v64
	v_fmac_f32_e32 v62, 0xbf167918, v15
	v_fmac_f32_e32 v63, 0x3e9e377a, v60
	;; [unrolled: 1-line block ×3, first 2 shown]
	v_add_f32_e32 v60, v18, v75
	v_fmac_f32_e32 v1, -0.5, v60
	v_mov_b32_e32 v64, v1
	v_fmac_f32_e32 v64, 0xbf737871, v15
	v_fmac_f32_e32 v1, 0x3f737871, v15
	v_mul_f32_e32 v16, v81, v103
	v_fmac_f32_e32 v64, 0x3f167918, v13
	v_fmac_f32_e32 v1, 0xbf167918, v13
	v_add_f32_e32 v13, v2, v11
	v_fmac_f32_e32 v16, v80, v102
	v_sub_f32_e32 v18, v70, v18
	v_sub_f32_e32 v60, v72, v75
	v_add_f32_e32 v13, v13, v12
	v_add_f32_e32 v18, v18, v60
	;; [unrolled: 1-line block ×3, first 2 shown]
	v_fmac_f32_e32 v64, 0x3e9e377a, v18
	v_fmac_f32_e32 v1, 0x3e9e377a, v18
	v_add_f32_e32 v18, v13, v17
	v_add_f32_e32 v13, v12, v16
	v_mul_f32_e32 v9, v85, v98
	v_fma_f32 v60, -0.5, v13, v2
	v_fma_f32 v9, v84, v99, -v9
	v_sub_f32_e32 v13, v8, v14
	v_mov_b32_e32 v15, v60
	v_fmac_f32_e32 v15, 0xbf737871, v13
	v_sub_f32_e32 v65, v9, v10
	v_sub_f32_e32 v66, v11, v12
	;; [unrolled: 1-line block ×3, first 2 shown]
	v_fmac_f32_e32 v60, 0x3f737871, v13
	v_fmac_f32_e32 v15, 0xbf167918, v65
	v_add_f32_e32 v66, v66, v67
	v_fmac_f32_e32 v60, 0x3f167918, v65
	v_fmac_f32_e32 v15, 0x3e9e377a, v66
	;; [unrolled: 1-line block ×3, first 2 shown]
	v_add_f32_e32 v66, v11, v17
	v_fmac_f32_e32 v2, -0.5, v66
	v_mov_b32_e32 v66, v2
	v_fmac_f32_e32 v66, 0x3f737871, v65
	v_fmac_f32_e32 v2, 0xbf737871, v65
	v_fmac_f32_e32 v66, 0xbf167918, v13
	v_fmac_f32_e32 v2, 0x3f167918, v13
	v_add_f32_e32 v13, v3, v8
	v_add_f32_e32 v13, v13, v9
	v_sub_f32_e32 v67, v12, v11
	v_sub_f32_e32 v68, v16, v17
	v_add_f32_e32 v13, v13, v10
	v_add_f32_e32 v67, v67, v68
	;; [unrolled: 1-line block ×4, first 2 shown]
	v_fmac_f32_e32 v66, 0x3e9e377a, v67
	v_fmac_f32_e32 v2, 0x3e9e377a, v67
	v_fma_f32 v67, -0.5, v13, v3
	v_sub_f32_e32 v11, v11, v17
	v_mov_b32_e32 v13, v67
	v_fmac_f32_e32 v13, 0x3f737871, v11
	v_sub_f32_e32 v12, v12, v16
	v_sub_f32_e32 v16, v8, v9
	;; [unrolled: 1-line block ×3, first 2 shown]
	v_fmac_f32_e32 v67, 0xbf737871, v11
	v_fmac_f32_e32 v13, 0x3f167918, v12
	v_add_f32_e32 v16, v16, v17
	v_fmac_f32_e32 v67, 0xbf167918, v12
	v_fmac_f32_e32 v13, 0x3e9e377a, v16
	;; [unrolled: 1-line block ×3, first 2 shown]
	v_add_f32_e32 v16, v8, v14
	v_fmac_f32_e32 v3, -0.5, v16
	v_mov_b32_e32 v17, v3
	v_fmac_f32_e32 v17, 0xbf737871, v12
	v_sub_f32_e32 v8, v9, v8
	v_sub_f32_e32 v9, v10, v14
	v_fmac_f32_e32 v17, 0x3f167918, v11
	v_add_f32_e32 v8, v8, v9
	v_fmac_f32_e32 v3, 0x3f737871, v12
	v_fmac_f32_e32 v17, 0x3e9e377a, v8
	;; [unrolled: 1-line block ×4, first 2 shown]
	v_mul_f32_e32 v69, 0xbf737871, v17
	v_mul_f32_e32 v73, 0x3e9e377a, v17
	v_fmac_f32_e32 v69, 0x3e9e377a, v66
	v_mul_f32_e32 v70, 0xbf737871, v3
	v_fmac_f32_e32 v73, 0x3f737871, v66
	v_mul_f32_e32 v66, 0xbe9e377a, v3
	v_add_f32_e32 v8, v56, v18
	v_fmac_f32_e32 v70, 0xbe9e377a, v2
	v_fmac_f32_e32 v66, 0x3f737871, v2
	v_sub_f32_e32 v2, v56, v18
	buffer_load_dword v18, off, s[24:27], 0 offset:456 ; 4-byte Folded Reload
	s_waitcnt vmcnt(0)
	ds_write2_b64 v18, v[4:5], v[19:20] offset1:75
	ds_write2_b64 v18, v[21:22], v[23:24] offset0:150 offset1:225
	buffer_load_dword v4, off, s[24:27], 0 offset:444 ; 4-byte Folded Reload
	v_mul_f32_e32 v68, 0xbf167918, v13
	v_mul_f32_e32 v72, 0x3f4f1bbd, v13
	v_fmac_f32_e32 v68, 0x3f4f1bbd, v15
	v_fmac_f32_e32 v72, 0x3f167918, v15
	v_add_f32_e32 v10, v58, v68
	v_add_f32_e32 v9, v61, v65
	;; [unrolled: 1-line block ×7, first 2 shown]
	v_mul_f32_e32 v71, 0xbf167918, v67
	v_mul_f32_e32 v67, 0xbf4f1bbd, v67
	v_fmac_f32_e32 v71, 0xbf4f1bbd, v60
	v_fmac_f32_e32 v67, 0x3f167918, v60
	v_add_f32_e32 v16, v57, v71
	v_add_f32_e32 v17, v62, v67
	v_sub_f32_e32 v3, v61, v65
	v_sub_f32_e32 v56, v58, v68
	;; [unrolled: 1-line block ×9, first 2 shown]
	s_waitcnt vmcnt(0)
	ds_write2_b64 v4, v[25:26], v[27:28] offset0:44 offset1:119
	buffer_load_dword v4, off, s[24:27], 0 offset:448 ; 4-byte Folded Reload
	s_waitcnt vmcnt(0)
	ds_write2_b64 v4, v[29:30], v[31:32] offset0:66 offset1:141
	buffer_load_dword v4, off, s[24:27], 0 offset:452 ; 4-byte Folded Reload
	;; [unrolled: 3-line block ×3, first 2 shown]
	s_waitcnt vmcnt(0)
	ds_write2_b64 v4, v[37:38], v[39:40] offset1:75
	ds_write2_b64 v4, v[41:42], v[43:44] offset0:150 offset1:225
	buffer_load_dword v4, off, s[24:27], 0 offset:460 ; 4-byte Folded Reload
	s_waitcnt vmcnt(0)
	ds_write2_b64 v4, v[46:47], v[48:49] offset0:44 offset1:119
	buffer_load_dword v4, off, s[24:27], 0 offset:464 ; 4-byte Folded Reload
	s_waitcnt vmcnt(0)
	;; [unrolled: 3-line block ×4, first 2 shown]
	ds_write2_b64 v4, v[8:9], v[10:11] offset1:75
	ds_write2_b64 v4, v[12:13], v[14:15] offset0:150 offset1:225
	buffer_load_dword v4, off, s[24:27], 0 offset:484 ; 4-byte Folded Reload
	s_waitcnt vmcnt(0)
	ds_write2_b64 v4, v[16:17], v[2:3] offset0:44 offset1:119
	buffer_load_dword v2, off, s[24:27], 0 offset:488 ; 4-byte Folded Reload
	s_waitcnt vmcnt(0)
	;; [unrolled: 3-line block ×3, first 2 shown]
	ds_write2_b64 v2, v[0:1], v[60:61] offset0:88 offset1:163
	s_waitcnt lgkmcnt(0)
	s_barrier
	ds_read2_b64 v[4:7], v74 offset1:125
	ds_read2_b64 v[12:15], v110 offset0:110 offset1:235
	ds_read2_b64 v[16:19], v113 offset0:92 offset1:217
	;; [unrolled: 1-line block ×14, first 2 shown]
	s_waitcnt lgkmcnt(13)
	v_mul_f32_e32 v44, v149, v13
	v_fmac_f32_e32 v44, v148, v12
	v_mul_f32_e32 v12, v149, v12
	v_fma_f32 v62, v148, v13, -v12
	s_waitcnt lgkmcnt(12)
	v_mul_f32_e32 v12, v151, v16
	v_fma_f32 v64, v150, v17, -v12
	s_waitcnt lgkmcnt(11)
	v_mul_f32_e32 v65, v145, v21
	v_mul_f32_e32 v12, v145, v20
	v_fmac_f32_e32 v65, v144, v20
	v_fma_f32 v20, v144, v21, -v12
	s_waitcnt lgkmcnt(10)
	v_mul_f32_e32 v12, v147, v24
	v_fma_f32 v21, v146, v25, -v12
	v_mul_f32_e32 v12, v157, v14
	v_fma_f32 v66, v156, v15, -v12
	;; [unrolled: 2-line block ×5, first 2 shown]
	s_waitcnt lgkmcnt(8)
	v_mul_f32_e32 v12, v169, v28
	v_fma_f32 v75, v168, v29, -v12
	s_waitcnt lgkmcnt(7)
	v_mul_f32_e32 v12, v171, v32
	v_fma_f32 v77, v170, v33, -v12
	s_waitcnt lgkmcnt(6)
	v_mul_f32_e32 v78, v161, v37
	v_mul_f32_e32 v12, v161, v36
	v_fmac_f32_e32 v78, v160, v36
	v_fma_f32 v36, v160, v37, -v12
	s_waitcnt lgkmcnt(5)
	v_mul_f32_e32 v12, v163, v40
	v_fma_f32 v37, v162, v41, -v12
	v_mul_f32_e32 v12, v177, v30
	v_fma_f32 v79, v176, v31, -v12
	;; [unrolled: 2-line block ×4, first 2 shown]
	v_mul_f32_e32 v12, v167, v42
	v_mul_f32_e32 v63, v151, v17
	v_fma_f32 v85, v166, v43, -v12
	s_waitcnt lgkmcnt(3)
	v_mul_f32_e32 v12, v185, v46
	v_fmac_f32_e32 v63, v150, v16
	v_fma_f32 v87, v184, v47, -v12
	s_waitcnt lgkmcnt(2)
	v_mul_f32_e32 v12, v187, v50
	v_mul_f32_e32 v17, v147, v25
	;; [unrolled: 1-line block ×3, first 2 shown]
	v_fma_f32 v89, v186, v51, -v12
	s_waitcnt lgkmcnt(1)
	v_mul_f32_e32 v90, v173, v55
	v_mul_f32_e32 v12, v173, v54
	v_add_f32_e32 v13, v63, v65
	v_fmac_f32_e32 v25, v156, v14
	v_fmac_f32_e32 v90, v172, v54
	v_fma_f32 v54, v172, v55, -v12
	s_waitcnt lgkmcnt(0)
	v_mul_f32_e32 v12, v175, v58
	v_fma_f32 v14, -0.5, v13, v4
	v_fmac_f32_e32 v17, v146, v24
	v_mul_f32_e32 v67, v159, v19
	v_fma_f32 v55, v174, v59, -v12
	v_mul_f32_e32 v12, v189, v48
	v_sub_f32_e32 v13, v62, v21
	v_mov_b32_e32 v16, v14
	v_fmac_f32_e32 v67, v158, v18
	v_fma_f32 v91, v188, v49, -v12
	v_mul_f32_e32 v12, v191, v52
	v_fmac_f32_e32 v16, 0xbf737871, v13
	v_sub_f32_e32 v15, v64, v20
	v_sub_f32_e32 v18, v44, v63
	v_sub_f32_e32 v19, v17, v65
	v_fmac_f32_e32 v14, 0x3f737871, v13
	v_fma_f32 v93, v190, v53, -v12
	v_mul_f32_e32 v12, v181, v56
	v_fmac_f32_e32 v16, 0xbf167918, v15
	v_add_f32_e32 v18, v18, v19
	v_fmac_f32_e32 v14, 0x3f167918, v15
	v_fma_f32 v95, v180, v57, -v12
	v_mul_f32_e32 v12, v183, v60
	v_fmac_f32_e32 v16, 0x3e9e377a, v18
	v_fmac_f32_e32 v14, 0x3e9e377a, v18
	v_add_f32_e32 v18, v44, v17
	v_fma_f32 v97, v182, v61, -v12
	v_add_f32_e32 v12, v4, v44
	v_fma_f32 v4, -0.5, v18, v4
	v_mov_b32_e32 v18, v4
	v_mul_f32_e32 v69, v153, v23
	v_add_f32_e32 v12, v12, v63
	v_fmac_f32_e32 v18, 0x3f737871, v15
	v_fmac_f32_e32 v4, 0xbf737871, v15
	v_add_f32_e32 v15, v64, v20
	v_fmac_f32_e32 v69, v152, v22
	v_add_f32_e32 v12, v12, v65
	v_sub_f32_e32 v19, v63, v44
	v_sub_f32_e32 v22, v65, v17
	v_fma_f32 v15, -0.5, v15, v5
	v_add_f32_e32 v12, v12, v17
	v_fmac_f32_e32 v18, 0xbf167918, v13
	v_add_f32_e32 v19, v19, v22
	v_fmac_f32_e32 v4, 0x3f167918, v13
	v_sub_f32_e32 v22, v44, v17
	v_mov_b32_e32 v17, v15
	v_fmac_f32_e32 v18, 0x3e9e377a, v19
	v_fmac_f32_e32 v4, 0x3e9e377a, v19
	;; [unrolled: 1-line block ×3, first 2 shown]
	v_sub_f32_e32 v23, v63, v65
	v_sub_f32_e32 v19, v62, v64
	;; [unrolled: 1-line block ×3, first 2 shown]
	v_fmac_f32_e32 v15, 0xbf737871, v22
	v_fmac_f32_e32 v17, 0x3f167918, v23
	v_add_f32_e32 v19, v19, v24
	v_fmac_f32_e32 v15, 0xbf167918, v23
	v_add_f32_e32 v13, v5, v62
	v_fmac_f32_e32 v17, 0x3e9e377a, v19
	v_fmac_f32_e32 v15, 0x3e9e377a, v19
	v_add_f32_e32 v19, v62, v21
	v_add_f32_e32 v13, v13, v64
	v_fma_f32 v5, -0.5, v19, v5
	v_add_f32_e32 v13, v13, v20
	v_mov_b32_e32 v19, v5
	v_add_f32_e32 v13, v13, v21
	v_fmac_f32_e32 v19, 0xbf737871, v23
	v_sub_f32_e32 v20, v20, v21
	v_fmac_f32_e32 v5, 0x3f737871, v23
	v_add_f32_e32 v21, v67, v69
	v_mul_f32_e32 v71, v155, v27
	v_fmac_f32_e32 v19, 0x3f167918, v22
	v_sub_f32_e32 v24, v64, v62
	v_fmac_f32_e32 v5, 0xbf167918, v22
	v_fma_f32 v22, -0.5, v21, v6
	v_fmac_f32_e32 v71, v154, v26
	v_add_f32_e32 v20, v24, v20
	v_sub_f32_e32 v21, v66, v72
	v_mov_b32_e32 v24, v22
	v_fmac_f32_e32 v24, 0xbf737871, v21
	v_sub_f32_e32 v23, v68, v70
	v_sub_f32_e32 v26, v25, v67
	v_sub_f32_e32 v27, v71, v69
	v_fmac_f32_e32 v22, 0x3f737871, v21
	v_fmac_f32_e32 v24, 0xbf167918, v23
	v_add_f32_e32 v26, v26, v27
	v_fmac_f32_e32 v22, 0x3f167918, v23
	v_fmac_f32_e32 v24, 0x3e9e377a, v26
	;; [unrolled: 1-line block ×3, first 2 shown]
	v_add_f32_e32 v26, v25, v71
	v_fmac_f32_e32 v19, 0x3e9e377a, v20
	v_fmac_f32_e32 v5, 0x3e9e377a, v20
	v_add_f32_e32 v20, v6, v25
	v_fma_f32 v6, -0.5, v26, v6
	v_mov_b32_e32 v26, v6
	v_mul_f32_e32 v73, v169, v29
	v_fmac_f32_e32 v26, 0x3f737871, v23
	v_fmac_f32_e32 v6, 0xbf737871, v23
	v_add_f32_e32 v23, v68, v70
	v_fmac_f32_e32 v73, v168, v28
	v_sub_f32_e32 v27, v67, v25
	v_sub_f32_e32 v28, v69, v71
	v_fma_f32 v23, -0.5, v23, v7
	v_mul_f32_e32 v76, v171, v33
	v_mul_f32_e32 v33, v163, v41
	;; [unrolled: 1-line block ×3, first 2 shown]
	v_fmac_f32_e32 v26, 0xbf167918, v21
	v_add_f32_e32 v27, v27, v28
	v_fmac_f32_e32 v6, 0x3f167918, v21
	v_sub_f32_e32 v28, v25, v71
	v_mov_b32_e32 v25, v23
	v_fmac_f32_e32 v41, v176, v30
	v_fmac_f32_e32 v26, 0x3e9e377a, v27
	;; [unrolled: 1-line block ×4, first 2 shown]
	v_sub_f32_e32 v29, v67, v69
	v_sub_f32_e32 v27, v66, v68
	;; [unrolled: 1-line block ×3, first 2 shown]
	v_fmac_f32_e32 v23, 0xbf737871, v28
	v_fmac_f32_e32 v25, 0x3f167918, v29
	v_add_f32_e32 v27, v27, v30
	v_fmac_f32_e32 v23, 0xbf167918, v29
	v_fmac_f32_e32 v25, 0x3e9e377a, v27
	;; [unrolled: 1-line block ×3, first 2 shown]
	v_add_f32_e32 v27, v66, v72
	v_add_f32_e32 v21, v7, v66
	v_fmac_f32_e32 v7, -0.5, v27
	v_mov_b32_e32 v27, v7
	v_fmac_f32_e32 v76, v170, v32
	v_fmac_f32_e32 v27, 0xbf737871, v29
	v_sub_f32_e32 v30, v68, v66
	v_sub_f32_e32 v31, v70, v72
	v_fmac_f32_e32 v7, 0x3f737871, v29
	v_fmac_f32_e32 v27, 0x3f167918, v28
	v_add_f32_e32 v30, v30, v31
	v_fmac_f32_e32 v7, 0xbf167918, v28
	v_add_f32_e32 v29, v76, v78
	v_fmac_f32_e32 v27, 0x3e9e377a, v30
	v_fmac_f32_e32 v7, 0x3e9e377a, v30
	v_fma_f32 v30, -0.5, v29, v8
	v_fmac_f32_e32 v33, v162, v40
	v_mul_f32_e32 v80, v179, v35
	v_sub_f32_e32 v29, v75, v37
	v_mov_b32_e32 v32, v30
	v_fmac_f32_e32 v80, v178, v34
	v_fmac_f32_e32 v32, 0xbf737871, v29
	v_sub_f32_e32 v31, v77, v36
	v_sub_f32_e32 v34, v73, v76
	;; [unrolled: 1-line block ×3, first 2 shown]
	v_fmac_f32_e32 v30, 0x3f737871, v29
	v_fmac_f32_e32 v32, 0xbf167918, v31
	v_add_f32_e32 v34, v34, v35
	v_fmac_f32_e32 v30, 0x3f167918, v31
	v_fmac_f32_e32 v32, 0x3e9e377a, v34
	;; [unrolled: 1-line block ×3, first 2 shown]
	v_add_f32_e32 v34, v73, v33
	v_add_f32_e32 v28, v8, v73
	v_fma_f32 v8, -0.5, v34, v8
	v_mov_b32_e32 v34, v8
	v_mul_f32_e32 v82, v165, v39
	v_add_f32_e32 v28, v28, v76
	v_fmac_f32_e32 v34, 0x3f737871, v31
	v_fmac_f32_e32 v8, 0xbf737871, v31
	v_add_f32_e32 v31, v77, v36
	v_fmac_f32_e32 v82, v164, v38
	v_add_f32_e32 v28, v28, v78
	v_sub_f32_e32 v35, v76, v73
	v_sub_f32_e32 v38, v78, v33
	v_fma_f32 v31, -0.5, v31, v9
	v_add_f32_e32 v28, v28, v33
	v_fmac_f32_e32 v34, 0xbf167918, v29
	v_add_f32_e32 v35, v35, v38
	v_fmac_f32_e32 v8, 0x3f167918, v29
	v_sub_f32_e32 v38, v73, v33
	v_mov_b32_e32 v33, v31
	v_fmac_f32_e32 v34, 0x3e9e377a, v35
	v_fmac_f32_e32 v8, 0x3e9e377a, v35
	;; [unrolled: 1-line block ×3, first 2 shown]
	v_sub_f32_e32 v39, v76, v78
	v_sub_f32_e32 v35, v75, v77
	;; [unrolled: 1-line block ×3, first 2 shown]
	v_fmac_f32_e32 v31, 0xbf737871, v38
	v_fmac_f32_e32 v33, 0x3f167918, v39
	v_add_f32_e32 v35, v35, v40
	v_fmac_f32_e32 v31, 0xbf167918, v39
	v_add_f32_e32 v29, v9, v75
	v_fmac_f32_e32 v33, 0x3e9e377a, v35
	v_fmac_f32_e32 v31, 0x3e9e377a, v35
	v_add_f32_e32 v35, v75, v37
	v_add_f32_e32 v29, v29, v77
	v_fma_f32 v9, -0.5, v35, v9
	v_add_f32_e32 v29, v29, v36
	v_mov_b32_e32 v35, v9
	v_add_f32_e32 v29, v29, v37
	v_fmac_f32_e32 v35, 0xbf737871, v39
	v_sub_f32_e32 v36, v36, v37
	v_fmac_f32_e32 v9, 0x3f737871, v39
	v_add_f32_e32 v37, v80, v82
	v_mul_f32_e32 v84, v167, v43
	v_fmac_f32_e32 v35, 0x3f167918, v38
	v_sub_f32_e32 v40, v77, v75
	v_fmac_f32_e32 v9, 0xbf167918, v38
	v_fma_f32 v38, -0.5, v37, v10
	v_fmac_f32_e32 v84, v166, v42
	v_add_f32_e32 v36, v40, v36
	v_sub_f32_e32 v37, v79, v85
	v_mov_b32_e32 v40, v38
	v_fmac_f32_e32 v40, 0xbf737871, v37
	v_sub_f32_e32 v39, v81, v83
	v_sub_f32_e32 v42, v41, v80
	;; [unrolled: 1-line block ×3, first 2 shown]
	v_fmac_f32_e32 v38, 0x3f737871, v37
	v_fmac_f32_e32 v40, 0xbf167918, v39
	v_add_f32_e32 v42, v42, v43
	v_fmac_f32_e32 v38, 0x3f167918, v39
	v_fmac_f32_e32 v40, 0x3e9e377a, v42
	;; [unrolled: 1-line block ×3, first 2 shown]
	v_add_f32_e32 v42, v41, v84
	v_fmac_f32_e32 v35, 0x3e9e377a, v36
	v_fmac_f32_e32 v9, 0x3e9e377a, v36
	v_add_f32_e32 v36, v10, v41
	v_fma_f32 v10, -0.5, v42, v10
	v_mov_b32_e32 v42, v10
	v_fmac_f32_e32 v42, 0x3f737871, v39
	v_fmac_f32_e32 v10, 0xbf737871, v39
	v_add_f32_e32 v39, v81, v83
	v_sub_f32_e32 v43, v80, v41
	v_sub_f32_e32 v44, v82, v84
	v_fma_f32 v39, -0.5, v39, v11
	v_mul_f32_e32 v86, v185, v47
	v_fmac_f32_e32 v42, 0xbf167918, v37
	v_add_f32_e32 v43, v43, v44
	v_fmac_f32_e32 v10, 0x3f167918, v37
	v_sub_f32_e32 v44, v41, v84
	v_mov_b32_e32 v41, v39
	v_fmac_f32_e32 v86, v184, v46
	v_fmac_f32_e32 v42, 0x3e9e377a, v43
	;; [unrolled: 1-line block ×4, first 2 shown]
	v_sub_f32_e32 v46, v80, v82
	v_sub_f32_e32 v43, v79, v81
	;; [unrolled: 1-line block ×3, first 2 shown]
	v_fmac_f32_e32 v39, 0xbf737871, v44
	v_fmac_f32_e32 v41, 0x3f167918, v46
	v_add_f32_e32 v43, v43, v47
	v_fmac_f32_e32 v39, 0xbf167918, v46
	v_fmac_f32_e32 v41, 0x3e9e377a, v43
	;; [unrolled: 1-line block ×3, first 2 shown]
	v_add_f32_e32 v43, v79, v85
	v_add_f32_e32 v37, v11, v79
	v_fmac_f32_e32 v11, -0.5, v43
	v_mov_b32_e32 v43, v11
	v_mul_f32_e32 v88, v187, v51
	v_fmac_f32_e32 v43, 0xbf737871, v46
	v_fmac_f32_e32 v11, 0x3f737871, v46
	;; [unrolled: 1-line block ×5, first 2 shown]
	v_add_f32_e32 v44, v0, v86
	v_mul_f32_e32 v51, v175, v59
	v_add_f32_e32 v44, v44, v88
	v_fmac_f32_e32 v51, v174, v58
	v_mul_f32_e32 v59, v189, v49
	v_add_f32_e32 v44, v44, v90
	v_fmac_f32_e32 v59, v188, v48
	v_sub_f32_e32 v47, v81, v79
	v_sub_f32_e32 v48, v83, v85
	v_add_f32_e32 v46, v44, v51
	v_add_f32_e32 v44, v88, v90
	;; [unrolled: 1-line block ×3, first 2 shown]
	v_fma_f32 v48, -0.5, v44, v0
	v_mul_f32_e32 v92, v191, v53
	v_sub_f32_e32 v44, v87, v55
	v_mov_b32_e32 v50, v48
	v_fmac_f32_e32 v92, v190, v52
	v_fmac_f32_e32 v43, 0x3e9e377a, v47
	;; [unrolled: 1-line block ×4, first 2 shown]
	v_sub_f32_e32 v47, v89, v54
	v_sub_f32_e32 v49, v86, v88
	;; [unrolled: 1-line block ×3, first 2 shown]
	v_fmac_f32_e32 v48, 0x3f737871, v44
	v_fmac_f32_e32 v50, 0xbf167918, v47
	v_add_f32_e32 v49, v49, v52
	v_fmac_f32_e32 v48, 0x3f167918, v47
	v_fmac_f32_e32 v50, 0x3e9e377a, v49
	;; [unrolled: 1-line block ×3, first 2 shown]
	v_add_f32_e32 v49, v86, v51
	v_fma_f32 v0, -0.5, v49, v0
	v_mov_b32_e32 v52, v0
	v_fmac_f32_e32 v52, 0x3f737871, v47
	v_fmac_f32_e32 v0, 0xbf737871, v47
	;; [unrolled: 1-line block ×4, first 2 shown]
	v_add_f32_e32 v44, v1, v87
	v_add_f32_e32 v44, v44, v89
	v_sub_f32_e32 v49, v88, v86
	v_sub_f32_e32 v53, v90, v51
	v_add_f32_e32 v44, v44, v54
	v_add_f32_e32 v49, v49, v53
	;; [unrolled: 1-line block ×4, first 2 shown]
	v_fmac_f32_e32 v52, 0x3e9e377a, v49
	v_fmac_f32_e32 v0, 0x3e9e377a, v49
	v_fma_f32 v49, -0.5, v44, v1
	v_mul_f32_e32 v94, v181, v57
	v_sub_f32_e32 v44, v86, v51
	v_mov_b32_e32 v51, v49
	v_fmac_f32_e32 v94, v180, v56
	v_fmac_f32_e32 v51, 0x3f737871, v44
	v_sub_f32_e32 v56, v88, v90
	v_sub_f32_e32 v53, v87, v89
	;; [unrolled: 1-line block ×3, first 2 shown]
	v_fmac_f32_e32 v49, 0xbf737871, v44
	v_fmac_f32_e32 v51, 0x3f167918, v56
	v_add_f32_e32 v53, v53, v57
	v_fmac_f32_e32 v49, 0xbf167918, v56
	v_fmac_f32_e32 v51, 0x3e9e377a, v53
	v_fmac_f32_e32 v49, 0x3e9e377a, v53
	v_add_f32_e32 v53, v87, v55
	v_fma_f32 v1, -0.5, v53, v1
	v_mov_b32_e32 v53, v1
	v_fmac_f32_e32 v53, 0xbf737871, v56
	v_fmac_f32_e32 v1, 0x3f737871, v56
	;; [unrolled: 1-line block ×4, first 2 shown]
	v_add_f32_e32 v44, v2, v59
	v_mul_f32_e32 v96, v183, v61
	v_sub_f32_e32 v57, v89, v87
	v_sub_f32_e32 v54, v54, v55
	v_add_f32_e32 v44, v44, v92
	v_fmac_f32_e32 v96, v182, v60
	v_add_f32_e32 v54, v57, v54
	v_add_f32_e32 v44, v44, v94
	v_fmac_f32_e32 v53, 0x3e9e377a, v54
	v_fmac_f32_e32 v1, 0x3e9e377a, v54
	v_add_f32_e32 v54, v44, v96
	v_add_f32_e32 v44, v92, v94
	v_fma_f32 v56, -0.5, v44, v2
	v_sub_f32_e32 v44, v91, v97
	v_mov_b32_e32 v58, v56
	v_fmac_f32_e32 v58, 0xbf737871, v44
	v_sub_f32_e32 v55, v93, v95
	v_sub_f32_e32 v57, v59, v92
	;; [unrolled: 1-line block ×3, first 2 shown]
	v_fmac_f32_e32 v56, 0x3f737871, v44
	v_fmac_f32_e32 v58, 0xbf167918, v55
	v_add_f32_e32 v57, v57, v60
	v_fmac_f32_e32 v56, 0x3f167918, v55
	v_fmac_f32_e32 v58, 0x3e9e377a, v57
	;; [unrolled: 1-line block ×3, first 2 shown]
	v_add_f32_e32 v57, v59, v96
	v_fma_f32 v2, -0.5, v57, v2
	v_mov_b32_e32 v60, v2
	v_fmac_f32_e32 v60, 0x3f737871, v55
	v_fmac_f32_e32 v2, 0xbf737871, v55
	;; [unrolled: 1-line block ×4, first 2 shown]
	v_add_f32_e32 v44, v3, v91
	v_add_f32_e32 v44, v44, v93
	v_sub_f32_e32 v57, v92, v59
	v_sub_f32_e32 v61, v94, v96
	v_add_f32_e32 v44, v44, v95
	v_add_f32_e32 v57, v57, v61
	;; [unrolled: 1-line block ×4, first 2 shown]
	v_fmac_f32_e32 v60, 0x3e9e377a, v57
	v_fmac_f32_e32 v2, 0x3e9e377a, v57
	v_fma_f32 v57, -0.5, v44, v3
	v_sub_f32_e32 v44, v59, v96
	v_mov_b32_e32 v59, v57
	v_add_f32_e32 v20, v20, v67
	v_add_f32_e32 v21, v21, v68
	v_fmac_f32_e32 v59, 0x3f737871, v44
	v_sub_f32_e32 v62, v92, v94
	v_sub_f32_e32 v61, v91, v93
	;; [unrolled: 1-line block ×3, first 2 shown]
	v_fmac_f32_e32 v57, 0xbf737871, v44
	v_add_f32_e32 v20, v20, v69
	v_add_f32_e32 v21, v21, v70
	v_fmac_f32_e32 v59, 0x3f167918, v62
	v_add_f32_e32 v61, v61, v63
	v_fmac_f32_e32 v57, 0xbf167918, v62
	v_add_f32_e32 v20, v20, v71
	v_add_f32_e32 v21, v21, v72
	v_fmac_f32_e32 v59, 0x3e9e377a, v61
	v_fmac_f32_e32 v57, 0x3e9e377a, v61
	v_add_f32_e32 v61, v91, v97
	ds_write_b64 v74, v[16:17] offset:6000
	ds_write_b64 v74, v[18:19] offset:12000
	;; [unrolled: 1-line block ×4, first 2 shown]
	ds_write2_b64 v74, v[12:13], v[20:21] offset1:125
	v_add_u32_e32 v4, 0x1800, v74
	v_fmac_f32_e32 v3, -0.5, v61
	ds_write2_b64 v4, v[24:25], v[32:33] offset0:107 offset1:232
	v_add_u32_e32 v4, 0x3000, v74
	v_add_f32_e32 v36, v36, v80
	v_add_f32_e32 v37, v37, v81
	v_mov_b32_e32 v61, v3
	v_sub_f32_e32 v63, v93, v91
	v_sub_f32_e32 v64, v95, v97
	v_fmac_f32_e32 v3, 0x3f737871, v62
	ds_write2_b64 v4, v[26:27], v[34:35] offset0:89 offset1:214
	v_add_u32_e32 v4, 0x4800, v74
	v_add_f32_e32 v36, v36, v82
	v_add_f32_e32 v37, v37, v83
	v_fmac_f32_e32 v61, 0xbf737871, v62
	v_add_f32_e32 v63, v63, v64
	v_fmac_f32_e32 v3, 0xbf167918, v44
	ds_write2_b64 v4, v[6:7], v[8:9] offset0:71 offset1:196
	v_add_u32_e32 v4, 0x6000, v74
	v_add_f32_e32 v36, v36, v84
	v_add_f32_e32 v37, v37, v85
	v_fmac_f32_e32 v61, 0x3f167918, v44
	v_fmac_f32_e32 v3, 0x3e9e377a, v63
	ds_write2_b64 v4, v[22:23], v[30:31] offset0:53 offset1:178
	ds_write2_b64 v206, v[28:29], v[36:37] offset0:122 offset1:247
	ds_write_b64 v74, v[42:43] offset:15000
	ds_write_b64 v74, v[10:11] offset:21000
	;; [unrolled: 1-line block ×3, first 2 shown]
	v_add_u32_e32 v4, 0x2000, v74
	v_fmac_f32_e32 v61, 0x3e9e377a, v63
	ds_write2_b64 v4, v[40:41], v[50:51] offset0:101 offset1:226
	ds_write2_b64 v229, v[46:47], v[54:55] offset0:116 offset1:241
	ds_write_b64 v74, v[58:59] offset:11000
	ds_write2_b64 v254, v[52:53], v[60:61] offset0:80 offset1:205
	ds_write2_b64 v255, v[0:1], v[2:3] offset0:62 offset1:187
	;; [unrolled: 1-line block ×3, first 2 shown]
	s_waitcnt lgkmcnt(0)
	s_barrier
	ds_read2_b64 v[0:3], v74 offset1:125
	buffer_load_dword v5, off, s[24:27], 0 offset:240 ; 4-byte Folded Reload
	buffer_load_dword v6, off, s[24:27], 0 offset:244 ; 4-byte Folded Reload
	v_mov_b32_e32 v8, s13
	s_waitcnt vmcnt(0) lgkmcnt(0)
	v_mul_f32_e32 v4, v6, v1
	v_mov_b32_e32 v7, v6
	v_fmac_f32_e32 v4, v5, v0
	v_mov_b32_e32 v6, v5
	v_mul_f32_e32 v0, v7, v0
	v_fma_f32 v0, v6, v1, -v0
	buffer_load_dword v6, off, s[24:27], 0 offset:440 ; 4-byte Folded Reload
	v_cvt_f64_f32_e32 v[4:5], v4
	v_cvt_f64_f32_e32 v[0:1], v0
	v_mul_f64 v[4:5], v[4:5], s[2:3]
	v_mul_f64 v[0:1], v[0:1], s[2:3]
	v_cvt_f32_f64_e32 v4, v[4:5]
	v_cvt_f32_f64_e32 v5, v[0:1]
	s_waitcnt vmcnt(0)
	v_mad_u64_u32 v[0:1], s[4:5], s0, v6, 0
	v_mad_u64_u32 v[6:7], s[4:5], s1, v6, v[1:2]
	s_mul_i32 s4, s1, 0x2710
	s_mul_hi_u32 s5, s0, 0x2710
	v_mov_b32_e32 v1, v6
	buffer_load_dword v6, off, s[24:27], 0 offset:152 ; 4-byte Folded Reload
	buffer_load_dword v7, off, s[24:27], 0 offset:156 ; 4-byte Folded Reload
	v_lshlrev_b64 v[0:1], 3, v[0:1]
	s_add_i32 s4, s5, s4
	s_mul_i32 s5, s0, 0x2710
	s_mulk_i32 s1, 0xb5c8
	s_add_i32 s1, s6, s1
	s_mulk_i32 s0, 0xb5c8
	s_waitcnt vmcnt(0)
	v_lshlrev_b64 v[6:7], 3, v[6:7]
	v_add_co_u32_e32 v6, vcc, s12, v6
	v_addc_co_u32_e32 v7, vcc, v8, v7, vcc
	v_add_co_u32_e32 v0, vcc, v6, v0
	v_addc_co_u32_e32 v1, vcc, v7, v1, vcc
	global_store_dwordx2 v[0:1], v[4:5], off
	ds_read2_b64 v[4:7], v205 offset0:98 offset1:223
	buffer_load_dword v9, off, s[24:27], 0 offset:224 ; 4-byte Folded Reload
	buffer_load_dword v10, off, s[24:27], 0 offset:228 ; 4-byte Folded Reload
	v_add_co_u32_e32 v0, vcc, s5, v0
	s_waitcnt vmcnt(0) lgkmcnt(0)
	v_mul_f32_e32 v8, v10, v5
	v_mov_b32_e32 v11, v10
	v_fmac_f32_e32 v8, v9, v4
	v_mov_b32_e32 v10, v9
	v_mul_f32_e32 v4, v11, v4
	v_fma_f32 v4, v10, v5, -v4
	v_cvt_f64_f32_e32 v[8:9], v8
	v_cvt_f64_f32_e32 v[4:5], v4
	v_mul_f64 v[8:9], v[8:9], s[2:3]
	v_mul_f64 v[4:5], v[4:5], s[2:3]
	v_cvt_f32_f64_e32 v8, v[8:9]
	v_cvt_f32_f64_e32 v9, v[4:5]
	v_mov_b32_e32 v4, s4
	v_addc_co_u32_e32 v1, vcc, v1, v4, vcc
	global_store_dwordx2 v[0:1], v[8:9], off
	ds_read2_b64 v[8:11], v204 offset0:68 offset1:193
	buffer_load_dword v12, off, s[24:27], 0 offset:216 ; 4-byte Folded Reload
	buffer_load_dword v13, off, s[24:27], 0 offset:220 ; 4-byte Folded Reload
	v_add_co_u32_e32 v0, vcc, s5, v0
	s_waitcnt vmcnt(0) lgkmcnt(0)
	v_mul_f32_e32 v4, v13, v9
	v_fmac_f32_e32 v4, v12, v8
	v_cvt_f64_f32_e32 v[4:5], v4
	v_mul_f64 v[4:5], v[4:5], s[2:3]
	v_cvt_f32_f64_e32 v4, v[4:5]
	v_mul_f32_e32 v5, v13, v8
	v_fma_f32 v5, v12, v9, -v5
	v_cvt_f64_f32_e32 v[8:9], v5
	v_mul_f64 v[8:9], v[8:9], s[2:3]
	v_cvt_f32_f64_e32 v5, v[8:9]
	v_mov_b32_e32 v8, s4
	v_addc_co_u32_e32 v1, vcc, v1, v8, vcc
	global_store_dwordx2 v[0:1], v[4:5], off
	buffer_load_dword v8, off, s[24:27], 0 offset:208 ; 4-byte Folded Reload
	buffer_load_dword v9, off, s[24:27], 0 offset:212 ; 4-byte Folded Reload
	v_add_co_u32_e32 v0, vcc, s0, v0
	s_waitcnt vmcnt(0)
	v_mul_f32_e32 v4, v9, v3
	v_fmac_f32_e32 v4, v8, v2
	v_mul_f32_e32 v2, v9, v2
	v_fma_f32 v2, v8, v3, -v2
	v_cvt_f64_f32_e32 v[4:5], v4
	v_cvt_f64_f32_e32 v[2:3], v2
	v_mul_f64 v[4:5], v[4:5], s[2:3]
	v_mul_f64 v[2:3], v[2:3], s[2:3]
	v_cvt_f32_f64_e32 v4, v[4:5]
	v_cvt_f32_f64_e32 v5, v[2:3]
	v_mov_b32_e32 v2, s1
	v_addc_co_u32_e32 v1, vcc, v1, v2, vcc
	global_store_dwordx2 v[0:1], v[4:5], off
	buffer_load_dword v3, off, s[24:27], 0 offset:160 ; 4-byte Folded Reload
	s_nop 0
	buffer_load_dword v4, off, s[24:27], 0 offset:164 ; 4-byte Folded Reload
	v_add_co_u32_e32 v0, vcc, s5, v0
	s_waitcnt vmcnt(0)
	v_mul_f32_e32 v2, v4, v7
	v_fmac_f32_e32 v2, v3, v6
	v_mov_b32_e32 v5, v4
	v_mov_b32_e32 v4, v3
	v_cvt_f64_f32_e32 v[2:3], v2
	v_mul_f64 v[2:3], v[2:3], s[2:3]
	v_cvt_f32_f64_e32 v2, v[2:3]
	v_mul_f32_e32 v3, v5, v6
	v_fma_f32 v3, v4, v7, -v3
	v_cvt_f64_f32_e32 v[3:4], v3
	v_mul_f64 v[3:4], v[3:4], s[2:3]
	v_cvt_f32_f64_e32 v3, v[3:4]
	v_mov_b32_e32 v4, s4
	v_addc_co_u32_e32 v1, vcc, v1, v4, vcc
	global_store_dwordx2 v[0:1], v[2:3], off
	buffer_load_dword v3, off, s[24:27], 0 offset:200 ; 4-byte Folded Reload
	s_nop 0
	buffer_load_dword v4, off, s[24:27], 0 offset:204 ; 4-byte Folded Reload
	s_waitcnt vmcnt(0)
	v_mul_f32_e32 v2, v4, v11
	v_fmac_f32_e32 v2, v3, v10
	v_mov_b32_e32 v5, v4
	v_mov_b32_e32 v4, v3
	v_cvt_f64_f32_e32 v[2:3], v2
	v_mul_f64 v[2:3], v[2:3], s[2:3]
	v_cvt_f32_f64_e32 v2, v[2:3]
	v_mul_f32_e32 v3, v5, v10
	v_fma_f32 v3, v4, v11, -v3
	v_cvt_f64_f32_e32 v[3:4], v3
	v_mul_f64 v[3:4], v[3:4], s[2:3]
	v_cvt_f32_f64_e32 v3, v[3:4]
	v_add_co_u32_e32 v4, vcc, s5, v0
	v_mov_b32_e32 v0, s4
	v_addc_co_u32_e32 v5, vcc, v1, v0, vcc
	global_store_dwordx2 v[4:5], v[2:3], off
	ds_read2_b64 v[0:3], v206 offset0:122 offset1:247
	buffer_load_dword v7, off, s[24:27], 0 offset:184 ; 4-byte Folded Reload
	buffer_load_dword v8, off, s[24:27], 0 offset:188 ; 4-byte Folded Reload
	s_waitcnt vmcnt(0) lgkmcnt(0)
	v_mul_f32_e32 v6, v8, v1
	v_mov_b32_e32 v9, v8
	v_fmac_f32_e32 v6, v7, v0
	v_mov_b32_e32 v8, v7
	v_mul_f32_e32 v0, v9, v0
	v_fma_f32 v0, v8, v1, -v0
	v_cvt_f64_f32_e32 v[6:7], v6
	v_cvt_f64_f32_e32 v[0:1], v0
	v_mul_f64 v[6:7], v[6:7], s[2:3]
	v_mul_f64 v[0:1], v[0:1], s[2:3]
	v_cvt_f32_f64_e32 v6, v[6:7]
	v_cvt_f32_f64_e32 v7, v[0:1]
	v_add_co_u32_e32 v0, vcc, s0, v4
	v_mov_b32_e32 v1, s1
	v_addc_co_u32_e32 v1, vcc, v5, v1, vcc
	global_store_dwordx2 v[0:1], v[6:7], off
	ds_read2_b64 v[4:7], v113 offset0:92 offset1:217
	buffer_load_dword v9, off, s[24:27], 0 offset:128 ; 4-byte Folded Reload
	buffer_load_dword v10, off, s[24:27], 0 offset:132 ; 4-byte Folded Reload
	v_add_co_u32_e32 v0, vcc, s5, v0
	s_waitcnt vmcnt(0) lgkmcnt(0)
	v_mul_f32_e32 v8, v10, v5
	v_mov_b32_e32 v11, v10
	v_fmac_f32_e32 v8, v9, v4
	v_mov_b32_e32 v10, v9
	v_mul_f32_e32 v4, v11, v4
	v_fma_f32 v4, v10, v5, -v4
	v_cvt_f64_f32_e32 v[8:9], v8
	v_cvt_f64_f32_e32 v[4:5], v4
	v_mul_f64 v[8:9], v[8:9], s[2:3]
	v_mul_f64 v[4:5], v[4:5], s[2:3]
	v_cvt_f32_f64_e32 v8, v[8:9]
	v_cvt_f32_f64_e32 v9, v[4:5]
	v_mov_b32_e32 v4, s4
	v_addc_co_u32_e32 v1, vcc, v1, v4, vcc
	global_store_dwordx2 v[0:1], v[8:9], off
	ds_read2_b64 v[8:11], v255 offset0:62 offset1:187
	buffer_load_dword v12, off, s[24:27], 0 offset:96 ; 4-byte Folded Reload
	buffer_load_dword v13, off, s[24:27], 0 offset:100 ; 4-byte Folded Reload
	v_add_co_u32_e32 v0, vcc, s5, v0
	s_waitcnt vmcnt(0) lgkmcnt(0)
	v_mul_f32_e32 v4, v13, v9
	v_fmac_f32_e32 v4, v12, v8
	v_cvt_f64_f32_e32 v[4:5], v4
	v_mul_f64 v[4:5], v[4:5], s[2:3]
	v_cvt_f32_f64_e32 v4, v[4:5]
	v_mul_f32_e32 v5, v13, v8
	v_fma_f32 v5, v12, v9, -v5
	v_cvt_f64_f32_e32 v[8:9], v5
	v_mul_f64 v[8:9], v[8:9], s[2:3]
	v_cvt_f32_f64_e32 v5, v[8:9]
	v_mov_b32_e32 v8, s4
	v_addc_co_u32_e32 v1, vcc, v1, v8, vcc
	global_store_dwordx2 v[0:1], v[4:5], off
	buffer_load_dword v8, off, s[24:27], 0 offset:120 ; 4-byte Folded Reload
	buffer_load_dword v9, off, s[24:27], 0 offset:124 ; 4-byte Folded Reload
	v_add_co_u32_e32 v0, vcc, s0, v0
	s_waitcnt vmcnt(0)
	v_mul_f32_e32 v4, v9, v3
	v_fmac_f32_e32 v4, v8, v2
	v_mul_f32_e32 v2, v9, v2
	v_fma_f32 v2, v8, v3, -v2
	v_cvt_f64_f32_e32 v[4:5], v4
	v_cvt_f64_f32_e32 v[2:3], v2
	v_mul_f64 v[4:5], v[4:5], s[2:3]
	v_mul_f64 v[2:3], v[2:3], s[2:3]
	v_cvt_f32_f64_e32 v4, v[4:5]
	v_cvt_f32_f64_e32 v5, v[2:3]
	v_mov_b32_e32 v2, s1
	v_addc_co_u32_e32 v1, vcc, v1, v2, vcc
	global_store_dwordx2 v[0:1], v[4:5], off
	buffer_load_dword v3, off, s[24:27], 0 offset:192 ; 4-byte Folded Reload
	s_nop 0
	buffer_load_dword v4, off, s[24:27], 0 offset:196 ; 4-byte Folded Reload
	v_add_co_u32_e32 v0, vcc, s5, v0
	s_waitcnt vmcnt(0)
	v_mul_f32_e32 v2, v4, v7
	v_fmac_f32_e32 v2, v3, v6
	v_mov_b32_e32 v5, v4
	v_mov_b32_e32 v4, v3
	v_cvt_f64_f32_e32 v[2:3], v2
	v_mul_f64 v[2:3], v[2:3], s[2:3]
	v_cvt_f32_f64_e32 v2, v[2:3]
	v_mul_f32_e32 v3, v5, v6
	v_fma_f32 v3, v4, v7, -v3
	v_cvt_f64_f32_e32 v[3:4], v3
	v_mul_f64 v[3:4], v[3:4], s[2:3]
	v_cvt_f32_f64_e32 v3, v[3:4]
	v_mov_b32_e32 v4, s4
	v_addc_co_u32_e32 v1, vcc, v1, v4, vcc
	global_store_dwordx2 v[0:1], v[2:3], off
	buffer_load_dword v3, off, s[24:27], 0 offset:168 ; 4-byte Folded Reload
	s_nop 0
	buffer_load_dword v4, off, s[24:27], 0 offset:172 ; 4-byte Folded Reload
	s_waitcnt vmcnt(0)
	v_mul_f32_e32 v2, v4, v11
	v_fmac_f32_e32 v2, v3, v10
	v_mov_b32_e32 v5, v4
	v_mov_b32_e32 v4, v3
	v_cvt_f64_f32_e32 v[2:3], v2
	v_mul_f64 v[2:3], v[2:3], s[2:3]
	v_cvt_f32_f64_e32 v2, v[2:3]
	v_mul_f32_e32 v3, v5, v10
	v_fma_f32 v3, v4, v11, -v3
	v_cvt_f64_f32_e32 v[3:4], v3
	v_mul_f64 v[3:4], v[3:4], s[2:3]
	v_cvt_f32_f64_e32 v3, v[3:4]
	v_add_co_u32_e32 v4, vcc, s5, v0
	v_mov_b32_e32 v0, s4
	v_addc_co_u32_e32 v5, vcc, v1, v0, vcc
	global_store_dwordx2 v[4:5], v[2:3], off
	ds_read2_b64 v[0:3], v229 offset0:116 offset1:241
	buffer_load_dword v7, off, s[24:27], 0 offset:136 ; 4-byte Folded Reload
	buffer_load_dword v8, off, s[24:27], 0 offset:140 ; 4-byte Folded Reload
	s_waitcnt vmcnt(0) lgkmcnt(0)
	v_mul_f32_e32 v6, v8, v1
	v_mov_b32_e32 v9, v8
	v_fmac_f32_e32 v6, v7, v0
	v_mov_b32_e32 v8, v7
	v_mul_f32_e32 v0, v9, v0
	v_fma_f32 v0, v8, v1, -v0
	v_cvt_f64_f32_e32 v[6:7], v6
	v_cvt_f64_f32_e32 v[0:1], v0
	v_mul_f64 v[6:7], v[6:7], s[2:3]
	v_mul_f64 v[0:1], v[0:1], s[2:3]
	v_cvt_f32_f64_e32 v6, v[6:7]
	v_cvt_f32_f64_e32 v7, v[0:1]
	v_add_co_u32_e32 v0, vcc, s0, v4
	v_mov_b32_e32 v1, s1
	v_addc_co_u32_e32 v1, vcc, v5, v1, vcc
	global_store_dwordx2 v[0:1], v[6:7], off
	ds_read2_b64 v[4:7], v112 offset0:86 offset1:211
	buffer_load_dword v9, off, s[24:27], 0 offset:104 ; 4-byte Folded Reload
	buffer_load_dword v10, off, s[24:27], 0 offset:108 ; 4-byte Folded Reload
	v_add_co_u32_e32 v0, vcc, s5, v0
	s_waitcnt vmcnt(0) lgkmcnt(0)
	v_mul_f32_e32 v8, v10, v5
	v_mov_b32_e32 v11, v10
	v_fmac_f32_e32 v8, v9, v4
	v_mov_b32_e32 v10, v9
	v_mul_f32_e32 v4, v11, v4
	v_fma_f32 v4, v10, v5, -v4
	v_cvt_f64_f32_e32 v[8:9], v8
	v_cvt_f64_f32_e32 v[4:5], v4
	v_mul_f64 v[8:9], v[8:9], s[2:3]
	v_mul_f64 v[4:5], v[4:5], s[2:3]
	v_cvt_f32_f64_e32 v8, v[8:9]
	v_cvt_f32_f64_e32 v9, v[4:5]
	v_mov_b32_e32 v4, s4
	v_addc_co_u32_e32 v1, vcc, v1, v4, vcc
	global_store_dwordx2 v[0:1], v[8:9], off
	ds_read2_b64 v[8:11], v111 offset0:56 offset1:181
	buffer_load_dword v12, off, s[24:27], 0 offset:176 ; 4-byte Folded Reload
	buffer_load_dword v13, off, s[24:27], 0 offset:180 ; 4-byte Folded Reload
	v_add_co_u32_e32 v0, vcc, s5, v0
	s_waitcnt vmcnt(0) lgkmcnt(0)
	v_mul_f32_e32 v4, v13, v9
	v_fmac_f32_e32 v4, v12, v8
	v_cvt_f64_f32_e32 v[4:5], v4
	v_mul_f64 v[4:5], v[4:5], s[2:3]
	v_cvt_f32_f64_e32 v4, v[4:5]
	v_mul_f32_e32 v5, v13, v8
	v_fma_f32 v5, v12, v9, -v5
	v_cvt_f64_f32_e32 v[8:9], v5
	v_mul_f64 v[8:9], v[8:9], s[2:3]
	v_cvt_f32_f64_e32 v5, v[8:9]
	v_mov_b32_e32 v8, s4
	v_addc_co_u32_e32 v1, vcc, v1, v8, vcc
	global_store_dwordx2 v[0:1], v[4:5], off
	buffer_load_dword v8, off, s[24:27], 0 offset:144 ; 4-byte Folded Reload
	buffer_load_dword v9, off, s[24:27], 0 offset:148 ; 4-byte Folded Reload
	v_add_co_u32_e32 v0, vcc, s0, v0
	s_waitcnt vmcnt(0)
	v_mul_f32_e32 v4, v9, v3
	v_fmac_f32_e32 v4, v8, v2
	v_mul_f32_e32 v2, v9, v2
	v_fma_f32 v2, v8, v3, -v2
	v_cvt_f64_f32_e32 v[4:5], v4
	v_cvt_f64_f32_e32 v[2:3], v2
	v_mul_f64 v[4:5], v[4:5], s[2:3]
	v_mul_f64 v[2:3], v[2:3], s[2:3]
	v_cvt_f32_f64_e32 v4, v[4:5]
	v_cvt_f32_f64_e32 v5, v[2:3]
	v_mov_b32_e32 v2, s1
	v_addc_co_u32_e32 v1, vcc, v1, v2, vcc
	global_store_dwordx2 v[0:1], v[4:5], off
	buffer_load_dword v3, off, s[24:27], 0 offset:112 ; 4-byte Folded Reload
	s_nop 0
	buffer_load_dword v4, off, s[24:27], 0 offset:116 ; 4-byte Folded Reload
	v_add_co_u32_e32 v0, vcc, s5, v0
	s_waitcnt vmcnt(0)
	v_mul_f32_e32 v2, v4, v7
	v_fmac_f32_e32 v2, v3, v6
	v_mov_b32_e32 v5, v4
	v_mov_b32_e32 v4, v3
	v_cvt_f64_f32_e32 v[2:3], v2
	v_mul_f64 v[2:3], v[2:3], s[2:3]
	v_cvt_f32_f64_e32 v2, v[2:3]
	v_mul_f32_e32 v3, v5, v6
	v_fma_f32 v3, v4, v7, -v3
	v_cvt_f64_f32_e32 v[3:4], v3
	v_mul_f64 v[3:4], v[3:4], s[2:3]
	v_cvt_f32_f64_e32 v3, v[3:4]
	v_mov_b32_e32 v4, s4
	v_addc_co_u32_e32 v1, vcc, v1, v4, vcc
	global_store_dwordx2 v[0:1], v[2:3], off
	buffer_load_dword v3, off, s[24:27], 0 offset:88 ; 4-byte Folded Reload
	s_nop 0
	buffer_load_dword v4, off, s[24:27], 0 offset:92 ; 4-byte Folded Reload
	s_waitcnt vmcnt(0)
	v_mul_f32_e32 v2, v4, v11
	v_fmac_f32_e32 v2, v3, v10
	v_mov_b32_e32 v5, v4
	v_mov_b32_e32 v4, v3
	v_cvt_f64_f32_e32 v[2:3], v2
	v_mul_f64 v[2:3], v[2:3], s[2:3]
	v_cvt_f32_f64_e32 v2, v[2:3]
	v_mul_f32_e32 v3, v5, v10
	v_fma_f32 v3, v4, v11, -v3
	v_cvt_f64_f32_e32 v[3:4], v3
	v_mul_f64 v[3:4], v[3:4], s[2:3]
	v_cvt_f32_f64_e32 v3, v[3:4]
	v_add_co_u32_e32 v4, vcc, s5, v0
	v_mov_b32_e32 v0, s4
	v_addc_co_u32_e32 v5, vcc, v1, v0, vcc
	global_store_dwordx2 v[4:5], v[2:3], off
	ds_read2_b64 v[0:3], v110 offset0:110 offset1:235
	buffer_load_dword v7, off, s[24:27], 0 offset:80 ; 4-byte Folded Reload
	buffer_load_dword v8, off, s[24:27], 0 offset:84 ; 4-byte Folded Reload
	s_waitcnt vmcnt(0) lgkmcnt(0)
	v_mul_f32_e32 v6, v8, v1
	v_mov_b32_e32 v9, v8
	v_fmac_f32_e32 v6, v7, v0
	v_mov_b32_e32 v8, v7
	v_mul_f32_e32 v0, v9, v0
	v_fma_f32 v0, v8, v1, -v0
	v_cvt_f64_f32_e32 v[6:7], v6
	v_cvt_f64_f32_e32 v[0:1], v0
	v_mul_f64 v[6:7], v[6:7], s[2:3]
	v_mul_f64 v[0:1], v[0:1], s[2:3]
	v_cvt_f32_f64_e32 v6, v[6:7]
	v_cvt_f32_f64_e32 v7, v[0:1]
	v_add_co_u32_e32 v0, vcc, s0, v4
	v_mov_b32_e32 v1, s1
	v_addc_co_u32_e32 v1, vcc, v5, v1, vcc
	global_store_dwordx2 v[0:1], v[6:7], off
	ds_read2_b64 v[4:7], v254 offset0:80 offset1:205
	buffer_load_dword v9, off, s[24:27], 0 offset:72 ; 4-byte Folded Reload
	buffer_load_dword v10, off, s[24:27], 0 offset:76 ; 4-byte Folded Reload
	v_add_co_u32_e32 v0, vcc, s5, v0
	s_waitcnt vmcnt(0) lgkmcnt(0)
	v_mul_f32_e32 v8, v10, v5
	v_mov_b32_e32 v11, v10
	v_fmac_f32_e32 v8, v9, v4
	v_mov_b32_e32 v10, v9
	v_mul_f32_e32 v4, v11, v4
	v_fma_f32 v4, v10, v5, -v4
	v_cvt_f64_f32_e32 v[8:9], v8
	v_cvt_f64_f32_e32 v[4:5], v4
	v_mul_f64 v[8:9], v[8:9], s[2:3]
	v_mul_f64 v[4:5], v[4:5], s[2:3]
	v_cvt_f32_f64_e32 v8, v[8:9]
	v_cvt_f32_f64_e32 v9, v[4:5]
	v_mov_b32_e32 v4, s4
	v_addc_co_u32_e32 v1, vcc, v1, v4, vcc
	global_store_dwordx2 v[0:1], v[8:9], off
	ds_read2_b64 v[8:11], v207 offset0:50 offset1:175
	buffer_load_dword v12, off, s[24:27], 0 offset:56 ; 4-byte Folded Reload
	buffer_load_dword v13, off, s[24:27], 0 offset:60 ; 4-byte Folded Reload
	v_add_co_u32_e32 v0, vcc, s5, v0
	s_waitcnt vmcnt(0) lgkmcnt(0)
	v_mul_f32_e32 v4, v13, v9
	v_fmac_f32_e32 v4, v12, v8
	v_cvt_f64_f32_e32 v[4:5], v4
	v_mul_f64 v[4:5], v[4:5], s[2:3]
	v_cvt_f32_f64_e32 v4, v[4:5]
	v_mul_f32_e32 v5, v13, v8
	v_fma_f32 v5, v12, v9, -v5
	v_cvt_f64_f32_e32 v[8:9], v5
	v_mul_f64 v[8:9], v[8:9], s[2:3]
	v_cvt_f32_f64_e32 v5, v[8:9]
	v_mov_b32_e32 v8, s4
	v_addc_co_u32_e32 v1, vcc, v1, v8, vcc
	global_store_dwordx2 v[0:1], v[4:5], off
	buffer_load_dword v8, off, s[24:27], 0 offset:40 ; 4-byte Folded Reload
	buffer_load_dword v9, off, s[24:27], 0 offset:44 ; 4-byte Folded Reload
	v_add_co_u32_e32 v0, vcc, s0, v0
	s_waitcnt vmcnt(0)
	v_mul_f32_e32 v4, v9, v3
	v_fmac_f32_e32 v4, v8, v2
	v_mul_f32_e32 v2, v9, v2
	v_fma_f32 v2, v8, v3, -v2
	v_cvt_f64_f32_e32 v[4:5], v4
	v_cvt_f64_f32_e32 v[2:3], v2
	v_mul_f64 v[4:5], v[4:5], s[2:3]
	v_mul_f64 v[2:3], v[2:3], s[2:3]
	v_cvt_f32_f64_e32 v4, v[4:5]
	v_cvt_f32_f64_e32 v5, v[2:3]
	v_mov_b32_e32 v2, s1
	v_addc_co_u32_e32 v1, vcc, v1, v2, vcc
	global_store_dwordx2 v[0:1], v[4:5], off
	buffer_load_dword v3, off, s[24:27], 0 offset:32 ; 4-byte Folded Reload
	s_nop 0
	buffer_load_dword v4, off, s[24:27], 0 offset:36 ; 4-byte Folded Reload
	v_add_co_u32_e32 v0, vcc, s5, v0
	s_waitcnt vmcnt(0)
	v_mul_f32_e32 v2, v4, v7
	v_fmac_f32_e32 v2, v3, v6
	v_mov_b32_e32 v5, v4
	v_mov_b32_e32 v4, v3
	v_cvt_f64_f32_e32 v[2:3], v2
	v_mul_f64 v[2:3], v[2:3], s[2:3]
	v_cvt_f32_f64_e32 v2, v[2:3]
	v_mul_f32_e32 v3, v5, v6
	v_fma_f32 v3, v4, v7, -v3
	v_cvt_f64_f32_e32 v[3:4], v3
	v_mul_f64 v[3:4], v[3:4], s[2:3]
	v_cvt_f32_f64_e32 v3, v[3:4]
	v_mov_b32_e32 v4, s4
	v_addc_co_u32_e32 v1, vcc, v1, v4, vcc
	global_store_dwordx2 v[0:1], v[2:3], off
	buffer_load_dword v3, off, s[24:27], 0 offset:24 ; 4-byte Folded Reload
	s_nop 0
	buffer_load_dword v4, off, s[24:27], 0 offset:28 ; 4-byte Folded Reload
	s_waitcnt vmcnt(0)
	v_mul_f32_e32 v2, v4, v11
	v_fmac_f32_e32 v2, v3, v10
	v_mov_b32_e32 v5, v4
	v_mov_b32_e32 v4, v3
	v_cvt_f64_f32_e32 v[2:3], v2
	v_mul_f64 v[2:3], v[2:3], s[2:3]
	v_cvt_f32_f64_e32 v2, v[2:3]
	v_mul_f32_e32 v3, v5, v10
	v_fma_f32 v3, v4, v11, -v3
	v_cvt_f64_f32_e32 v[3:4], v3
	v_mul_f64 v[3:4], v[3:4], s[2:3]
	v_cvt_f32_f64_e32 v3, v[3:4]
	v_add_co_u32_e32 v4, vcc, s5, v0
	v_mov_b32_e32 v0, s4
	v_addc_co_u32_e32 v5, vcc, v1, v0, vcc
	global_store_dwordx2 v[4:5], v[2:3], off
	ds_read2_b64 v[0:3], v108 offset0:104 offset1:229
	buffer_load_dword v7, off, s[24:27], 0 offset:16 ; 4-byte Folded Reload
	buffer_load_dword v8, off, s[24:27], 0 offset:20 ; 4-byte Folded Reload
	s_waitcnt vmcnt(0) lgkmcnt(0)
	v_mul_f32_e32 v6, v8, v1
	v_mov_b32_e32 v9, v8
	v_fmac_f32_e32 v6, v7, v0
	v_mov_b32_e32 v8, v7
	v_mul_f32_e32 v0, v9, v0
	v_fma_f32 v0, v8, v1, -v0
	v_cvt_f64_f32_e32 v[6:7], v6
	v_cvt_f64_f32_e32 v[0:1], v0
	v_mul_f64 v[6:7], v[6:7], s[2:3]
	v_mul_f64 v[0:1], v[0:1], s[2:3]
	v_cvt_f32_f64_e32 v6, v[6:7]
	v_cvt_f32_f64_e32 v7, v[0:1]
	v_add_co_u32_e32 v0, vcc, s0, v4
	v_mov_b32_e32 v1, s1
	v_addc_co_u32_e32 v1, vcc, v5, v1, vcc
	global_store_dwordx2 v[0:1], v[6:7], off
	ds_read2_b64 v[4:7], v228 offset0:74 offset1:199
	buffer_load_dword v9, off, s[24:27], 0 offset:8 ; 4-byte Folded Reload
	buffer_load_dword v10, off, s[24:27], 0 offset:12 ; 4-byte Folded Reload
	v_add_co_u32_e32 v0, vcc, s5, v0
	s_waitcnt vmcnt(0) lgkmcnt(0)
	v_mul_f32_e32 v8, v10, v5
	v_mov_b32_e32 v11, v10
	v_fmac_f32_e32 v8, v9, v4
	v_mov_b32_e32 v10, v9
	v_mul_f32_e32 v4, v11, v4
	v_fma_f32 v4, v10, v5, -v4
	v_cvt_f64_f32_e32 v[8:9], v8
	v_cvt_f64_f32_e32 v[4:5], v4
	v_mul_f64 v[8:9], v[8:9], s[2:3]
	v_mul_f64 v[4:5], v[4:5], s[2:3]
	v_cvt_f32_f64_e32 v8, v[8:9]
	v_cvt_f32_f64_e32 v9, v[4:5]
	v_mov_b32_e32 v4, s4
	v_addc_co_u32_e32 v1, vcc, v1, v4, vcc
	global_store_dwordx2 v[0:1], v[8:9], off
	ds_read2_b64 v[8:11], v45 offset0:44 offset1:169
	buffer_load_dword v12, off, s[24:27], 0 ; 4-byte Folded Reload
	buffer_load_dword v13, off, s[24:27], 0 offset:4 ; 4-byte Folded Reload
	v_add_co_u32_e32 v0, vcc, s5, v0
	s_waitcnt vmcnt(0) lgkmcnt(0)
	v_mul_f32_e32 v4, v13, v9
	v_fmac_f32_e32 v4, v12, v8
	v_cvt_f64_f32_e32 v[4:5], v4
	v_mul_f64 v[4:5], v[4:5], s[2:3]
	v_cvt_f32_f64_e32 v4, v[4:5]
	v_mul_f32_e32 v5, v13, v8
	v_fma_f32 v5, v12, v9, -v5
	v_cvt_f64_f32_e32 v[8:9], v5
	v_mul_f64 v[8:9], v[8:9], s[2:3]
	v_cvt_f32_f64_e32 v5, v[8:9]
	v_mov_b32_e32 v8, s4
	v_addc_co_u32_e32 v1, vcc, v1, v8, vcc
	global_store_dwordx2 v[0:1], v[4:5], off
	buffer_load_dword v8, off, s[24:27], 0 offset:64 ; 4-byte Folded Reload
	buffer_load_dword v9, off, s[24:27], 0 offset:68 ; 4-byte Folded Reload
	v_add_co_u32_e32 v0, vcc, s0, v0
	s_waitcnt vmcnt(0)
	v_mul_f32_e32 v4, v9, v3
	v_fmac_f32_e32 v4, v8, v2
	v_mul_f32_e32 v2, v9, v2
	v_fma_f32 v2, v8, v3, -v2
	v_cvt_f64_f32_e32 v[4:5], v4
	v_cvt_f64_f32_e32 v[2:3], v2
	v_mul_f64 v[4:5], v[4:5], s[2:3]
	v_mul_f64 v[2:3], v[2:3], s[2:3]
	v_cvt_f32_f64_e32 v4, v[4:5]
	v_cvt_f32_f64_e32 v5, v[2:3]
	v_mov_b32_e32 v2, s1
	v_addc_co_u32_e32 v1, vcc, v1, v2, vcc
	global_store_dwordx2 v[0:1], v[4:5], off
	buffer_load_dword v3, off, s[24:27], 0 offset:48 ; 4-byte Folded Reload
	s_nop 0
	buffer_load_dword v4, off, s[24:27], 0 offset:52 ; 4-byte Folded Reload
	v_add_co_u32_e32 v0, vcc, s5, v0
	s_waitcnt vmcnt(0)
	v_mul_f32_e32 v2, v4, v7
	v_fmac_f32_e32 v2, v3, v6
	v_mov_b32_e32 v5, v4
	v_mov_b32_e32 v4, v3
	v_cvt_f64_f32_e32 v[2:3], v2
	v_mul_f64 v[2:3], v[2:3], s[2:3]
	v_cvt_f32_f64_e32 v2, v[2:3]
	v_mul_f32_e32 v3, v5, v6
	v_fma_f32 v3, v4, v7, -v3
	v_cvt_f64_f32_e32 v[3:4], v3
	v_mul_f64 v[3:4], v[3:4], s[2:3]
	v_cvt_f32_f64_e32 v3, v[3:4]
	v_mov_b32_e32 v4, s4
	v_addc_co_u32_e32 v1, vcc, v1, v4, vcc
	global_store_dwordx2 v[0:1], v[2:3], off
	buffer_load_dword v3, off, s[24:27], 0 offset:232 ; 4-byte Folded Reload
	s_nop 0
	buffer_load_dword v4, off, s[24:27], 0 offset:236 ; 4-byte Folded Reload
	v_add_co_u32_e32 v0, vcc, s5, v0
	s_waitcnt vmcnt(0)
	v_mul_f32_e32 v2, v4, v11
	v_fmac_f32_e32 v2, v3, v10
	v_mov_b32_e32 v5, v4
	v_mov_b32_e32 v4, v3
	v_cvt_f64_f32_e32 v[2:3], v2
	v_mul_f64 v[2:3], v[2:3], s[2:3]
	v_cvt_f32_f64_e32 v2, v[2:3]
	v_mul_f32_e32 v3, v5, v10
	v_fma_f32 v3, v4, v11, -v3
	v_cvt_f64_f32_e32 v[3:4], v3
	v_mul_f64 v[3:4], v[3:4], s[2:3]
	v_cvt_f32_f64_e32 v3, v[3:4]
	v_mov_b32_e32 v4, s4
	v_addc_co_u32_e32 v1, vcc, v1, v4, vcc
	global_store_dwordx2 v[0:1], v[2:3], off
.LBB0_2:
	s_endpgm
	.section	.rodata,"a",@progbits
	.p2align	6, 0x0
	.amdhsa_kernel bluestein_single_back_len3750_dim1_sp_op_CI_CI
		.amdhsa_group_segment_fixed_size 30000
		.amdhsa_private_segment_fixed_size 536
		.amdhsa_kernarg_size 104
		.amdhsa_user_sgpr_count 6
		.amdhsa_user_sgpr_private_segment_buffer 1
		.amdhsa_user_sgpr_dispatch_ptr 0
		.amdhsa_user_sgpr_queue_ptr 0
		.amdhsa_user_sgpr_kernarg_segment_ptr 1
		.amdhsa_user_sgpr_dispatch_id 0
		.amdhsa_user_sgpr_flat_scratch_init 0
		.amdhsa_user_sgpr_private_segment_size 0
		.amdhsa_uses_dynamic_stack 0
		.amdhsa_system_sgpr_private_segment_wavefront_offset 1
		.amdhsa_system_sgpr_workgroup_id_x 1
		.amdhsa_system_sgpr_workgroup_id_y 0
		.amdhsa_system_sgpr_workgroup_id_z 0
		.amdhsa_system_sgpr_workgroup_info 0
		.amdhsa_system_vgpr_workitem_id 0
		.amdhsa_next_free_vgpr 256
		.amdhsa_next_free_sgpr 28
		.amdhsa_reserve_vcc 1
		.amdhsa_reserve_flat_scratch 0
		.amdhsa_float_round_mode_32 0
		.amdhsa_float_round_mode_16_64 0
		.amdhsa_float_denorm_mode_32 3
		.amdhsa_float_denorm_mode_16_64 3
		.amdhsa_dx10_clamp 1
		.amdhsa_ieee_mode 1
		.amdhsa_fp16_overflow 0
		.amdhsa_exception_fp_ieee_invalid_op 0
		.amdhsa_exception_fp_denorm_src 0
		.amdhsa_exception_fp_ieee_div_zero 0
		.amdhsa_exception_fp_ieee_overflow 0
		.amdhsa_exception_fp_ieee_underflow 0
		.amdhsa_exception_fp_ieee_inexact 0
		.amdhsa_exception_int_div_zero 0
	.end_amdhsa_kernel
	.text
.Lfunc_end0:
	.size	bluestein_single_back_len3750_dim1_sp_op_CI_CI, .Lfunc_end0-bluestein_single_back_len3750_dim1_sp_op_CI_CI
                                        ; -- End function
	.section	.AMDGPU.csdata,"",@progbits
; Kernel info:
; codeLenInByte = 37836
; NumSgprs: 32
; NumVgprs: 256
; ScratchSize: 536
; MemoryBound: 0
; FloatMode: 240
; IeeeMode: 1
; LDSByteSize: 30000 bytes/workgroup (compile time only)
; SGPRBlocks: 3
; VGPRBlocks: 63
; NumSGPRsForWavesPerEU: 32
; NumVGPRsForWavesPerEU: 256
; Occupancy: 1
; WaveLimiterHint : 1
; COMPUTE_PGM_RSRC2:SCRATCH_EN: 1
; COMPUTE_PGM_RSRC2:USER_SGPR: 6
; COMPUTE_PGM_RSRC2:TRAP_HANDLER: 0
; COMPUTE_PGM_RSRC2:TGID_X_EN: 1
; COMPUTE_PGM_RSRC2:TGID_Y_EN: 0
; COMPUTE_PGM_RSRC2:TGID_Z_EN: 0
; COMPUTE_PGM_RSRC2:TIDIG_COMP_CNT: 0
	.type	__hip_cuid_721a2f0e658a44de,@object ; @__hip_cuid_721a2f0e658a44de
	.section	.bss,"aw",@nobits
	.globl	__hip_cuid_721a2f0e658a44de
__hip_cuid_721a2f0e658a44de:
	.byte	0                               ; 0x0
	.size	__hip_cuid_721a2f0e658a44de, 1

	.ident	"AMD clang version 19.0.0git (https://github.com/RadeonOpenCompute/llvm-project roc-6.4.0 25133 c7fe45cf4b819c5991fe208aaa96edf142730f1d)"
	.section	".note.GNU-stack","",@progbits
	.addrsig
	.addrsig_sym __hip_cuid_721a2f0e658a44de
	.amdgpu_metadata
---
amdhsa.kernels:
  - .args:
      - .actual_access:  read_only
        .address_space:  global
        .offset:         0
        .size:           8
        .value_kind:     global_buffer
      - .actual_access:  read_only
        .address_space:  global
        .offset:         8
        .size:           8
        .value_kind:     global_buffer
      - .actual_access:  read_only
        .address_space:  global
        .offset:         16
        .size:           8
        .value_kind:     global_buffer
      - .actual_access:  read_only
        .address_space:  global
        .offset:         24
        .size:           8
        .value_kind:     global_buffer
      - .actual_access:  read_only
        .address_space:  global
        .offset:         32
        .size:           8
        .value_kind:     global_buffer
      - .offset:         40
        .size:           8
        .value_kind:     by_value
      - .address_space:  global
        .offset:         48
        .size:           8
        .value_kind:     global_buffer
      - .address_space:  global
        .offset:         56
        .size:           8
        .value_kind:     global_buffer
      - .address_space:  global
        .offset:         64
        .size:           8
        .value_kind:     global_buffer
      - .address_space:  global
        .offset:         72
        .size:           8
        .value_kind:     global_buffer
      - .offset:         80
        .size:           4
        .value_kind:     by_value
      - .address_space:  global
        .offset:         88
        .size:           8
        .value_kind:     global_buffer
      - .address_space:  global
        .offset:         96
        .size:           8
        .value_kind:     global_buffer
    .group_segment_fixed_size: 30000
    .kernarg_segment_align: 8
    .kernarg_segment_size: 104
    .language:       OpenCL C
    .language_version:
      - 2
      - 0
    .max_flat_workgroup_size: 125
    .name:           bluestein_single_back_len3750_dim1_sp_op_CI_CI
    .private_segment_fixed_size: 536
    .sgpr_count:     32
    .sgpr_spill_count: 0
    .symbol:         bluestein_single_back_len3750_dim1_sp_op_CI_CI.kd
    .uniform_work_group_size: 1
    .uses_dynamic_stack: false
    .vgpr_count:     256
    .vgpr_spill_count: 133
    .wavefront_size: 64
amdhsa.target:   amdgcn-amd-amdhsa--gfx906
amdhsa.version:
  - 1
  - 2
...

	.end_amdgpu_metadata
